;; amdgpu-corpus repo=ROCm/hipBLASLt kind=compiled arch=gfx1100 opt=O3
	.text
	.amdgcn_target "amdgcn-amd-amdhsa--gfx1100"
	.amdhsa_code_object_version 6
	.section	.text._Z11fill_kernelIfZ21hipblaslt_init_deviceIfEv8ABC_dims24hipblaslt_initializationbPT_mmmmmEUlmE_EvS4_mmT0_,"axG",@progbits,_Z11fill_kernelIfZ21hipblaslt_init_deviceIfEv8ABC_dims24hipblaslt_initializationbPT_mmmmmEUlmE_EvS4_mmT0_,comdat
	.protected	_Z11fill_kernelIfZ21hipblaslt_init_deviceIfEv8ABC_dims24hipblaslt_initializationbPT_mmmmmEUlmE_EvS4_mmT0_ ; -- Begin function _Z11fill_kernelIfZ21hipblaslt_init_deviceIfEv8ABC_dims24hipblaslt_initializationbPT_mmmmmEUlmE_EvS4_mmT0_
	.globl	_Z11fill_kernelIfZ21hipblaslt_init_deviceIfEv8ABC_dims24hipblaslt_initializationbPT_mmmmmEUlmE_EvS4_mmT0_
	.p2align	8
	.type	_Z11fill_kernelIfZ21hipblaslt_init_deviceIfEv8ABC_dims24hipblaslt_initializationbPT_mmmmmEUlmE_EvS4_mmT0_,@function
_Z11fill_kernelIfZ21hipblaslt_init_deviceIfEv8ABC_dims24hipblaslt_initializationbPT_mmmmmEUlmE_EvS4_mmT0_: ; @_Z11fill_kernelIfZ21hipblaslt_init_deviceIfEv8ABC_dims24hipblaslt_initializationbPT_mmmmmEUlmE_EvS4_mmT0_
; %bb.0:
	s_clause 0x1
	s_load_b32 s2, s[0:1], 0x1b4
	s_load_b128 s[4:7], s[0:1], 0x0
	s_waitcnt lgkmcnt(0)
	s_and_b32 s2, s2, 0xffff
	s_delay_alu instid0(SALU_CYCLE_1) | instskip(SKIP_2) | instid1(VALU_DEP_1)
	v_mad_u64_u32 v[1:2], null, s15, s2, v[0:1]
	v_mov_b32_e32 v2, 0
	s_mov_b32 s2, exec_lo
	v_cmpx_gt_u64_e64 s[6:7], v[1:2]
	s_cbranch_execz .LBB0_2
; %bb.1:
	s_load_b64 s[2:3], s[0:1], 0x10
	s_mov_b32 s6, 0x19660d
	s_waitcnt lgkmcnt(0)
	v_add_co_u32 v0, s2, v1, s2
	s_delay_alu instid0(VALU_DEP_1) | instskip(NEXT) | instid1(VALU_DEP_2)
	v_add_co_ci_u32_e64 v1, null, 0, s3, s2
	v_mad_u64_u32 v[2:3], null, v0, s6, 0x3c6ef35f
	s_delay_alu instid0(VALU_DEP_1) | instskip(SKIP_1) | instid1(VALU_DEP_1)
	v_mad_u64_u32 v[4:5], null, 0x19660d, v1, v[3:4]
	v_lshlrev_b64 v[0:1], 2, v[0:1]
	v_add_co_u32 v0, vcc_lo, s4, v0
	s_delay_alu instid0(VALU_DEP_3) | instskip(NEXT) | instid1(VALU_DEP_3)
	v_mov_b32_e32 v3, v4
	v_add_co_ci_u32_e32 v1, vcc_lo, s5, v1, vcc_lo
	s_delay_alu instid0(VALU_DEP_2) | instskip(NEXT) | instid1(VALU_DEP_1)
	v_lshlrev_b64 v[4:5], 13, v[2:3]
	v_xor_b32_e32 v3, v5, v3
	s_delay_alu instid0(VALU_DEP_2) | instskip(NEXT) | instid1(VALU_DEP_1)
	v_xor_b32_e32 v2, v4, v2
	v_lshrrev_b64 v[4:5], 17, v[2:3]
	s_delay_alu instid0(VALU_DEP_1) | instskip(NEXT) | instid1(VALU_DEP_2)
	v_xor_b32_e32 v3, v5, v3
	v_xor_b32_e32 v2, v4, v2
	s_delay_alu instid0(VALU_DEP_1) | instskip(NEXT) | instid1(VALU_DEP_1)
	v_lshlrev_b64 v[4:5], 5, v[2:3]
	v_xor_b32_e32 v3, v5, v3
	s_delay_alu instid0(VALU_DEP_2) | instskip(NEXT) | instid1(VALU_DEP_1)
	v_xor_b32_e32 v2, v4, v2
	v_lshlrev_b64 v[4:5], 13, v[2:3]
	s_delay_alu instid0(VALU_DEP_1) | instskip(NEXT) | instid1(VALU_DEP_2)
	v_xor_b32_e32 v3, v5, v3
	v_xor_b32_e32 v2, v4, v2
	s_delay_alu instid0(VALU_DEP_1) | instskip(NEXT) | instid1(VALU_DEP_1)
	v_lshrrev_b64 v[4:5], 17, v[2:3]
	v_xor_b32_e32 v3, v5, v3
	s_delay_alu instid0(VALU_DEP_2) | instskip(NEXT) | instid1(VALU_DEP_1)
	v_xor_b32_e32 v2, v4, v2
	v_lshlrev_b64 v[4:5], 5, v[2:3]
	s_delay_alu instid0(VALU_DEP_1) | instskip(NEXT) | instid1(VALU_DEP_2)
	v_xor_b32_e32 v3, v5, v3
	v_xor_b32_e32 v2, v4, v2
	s_delay_alu instid0(VALU_DEP_1) | instskip(NEXT) | instid1(VALU_DEP_1)
	v_lshlrev_b64 v[4:5], 13, v[2:3]
	v_xor_b32_e32 v3, v5, v3
	s_delay_alu instid0(VALU_DEP_2) | instskip(NEXT) | instid1(VALU_DEP_1)
	v_xor_b32_e32 v2, v4, v2
	v_alignbit_b32 v3, v3, v2, 17
	s_delay_alu instid0(VALU_DEP_1) | instskip(NEXT) | instid1(VALU_DEP_1)
	v_xor_b32_e32 v2, v3, v2
	v_lshlrev_b32_e32 v3, 5, v2
	s_delay_alu instid0(VALU_DEP_1) | instskip(NEXT) | instid1(VALU_DEP_1)
	v_xor_b32_e32 v2, v3, v2
	v_mul_hi_u32 v3, 0x51eb851f, v2
	s_delay_alu instid0(VALU_DEP_1) | instskip(NEXT) | instid1(VALU_DEP_1)
	v_lshrrev_b32_e32 v3, 5, v3
	v_mul_lo_u32 v3, 0x64, v3
	s_delay_alu instid0(VALU_DEP_1) | instskip(NEXT) | instid1(VALU_DEP_1)
	v_sub_nc_u32_e32 v2, v2, v3
	v_lshlrev_b32_e32 v2, 2, v2
	global_load_b32 v2, v2, s[0:1] offset:24
	s_waitcnt vmcnt(0)
	global_store_b32 v[0:1], v2, off
.LBB0_2:
	s_nop 0
	s_sendmsg sendmsg(MSG_DEALLOC_VGPRS)
	s_endpgm
	.section	.rodata,"a",@progbits
	.p2align	6, 0x0
	.amdhsa_kernel _Z11fill_kernelIfZ21hipblaslt_init_deviceIfEv8ABC_dims24hipblaslt_initializationbPT_mmmmmEUlmE_EvS4_mmT0_
		.amdhsa_group_segment_fixed_size 0
		.amdhsa_private_segment_fixed_size 0
		.amdhsa_kernarg_size 680
		.amdhsa_user_sgpr_count 15
		.amdhsa_user_sgpr_dispatch_ptr 0
		.amdhsa_user_sgpr_queue_ptr 0
		.amdhsa_user_sgpr_kernarg_segment_ptr 1
		.amdhsa_user_sgpr_dispatch_id 0
		.amdhsa_user_sgpr_private_segment_size 0
		.amdhsa_wavefront_size32 1
		.amdhsa_uses_dynamic_stack 0
		.amdhsa_enable_private_segment 0
		.amdhsa_system_sgpr_workgroup_id_x 1
		.amdhsa_system_sgpr_workgroup_id_y 0
		.amdhsa_system_sgpr_workgroup_id_z 0
		.amdhsa_system_sgpr_workgroup_info 0
		.amdhsa_system_vgpr_workitem_id 0
		.amdhsa_next_free_vgpr 6
		.amdhsa_next_free_sgpr 16
		.amdhsa_reserve_vcc 1
		.amdhsa_float_round_mode_32 0
		.amdhsa_float_round_mode_16_64 0
		.amdhsa_float_denorm_mode_32 3
		.amdhsa_float_denorm_mode_16_64 3
		.amdhsa_dx10_clamp 1
		.amdhsa_ieee_mode 1
		.amdhsa_fp16_overflow 0
		.amdhsa_workgroup_processor_mode 1
		.amdhsa_memory_ordered 1
		.amdhsa_forward_progress 0
		.amdhsa_shared_vgpr_count 0
		.amdhsa_exception_fp_ieee_invalid_op 0
		.amdhsa_exception_fp_denorm_src 0
		.amdhsa_exception_fp_ieee_div_zero 0
		.amdhsa_exception_fp_ieee_overflow 0
		.amdhsa_exception_fp_ieee_underflow 0
		.amdhsa_exception_fp_ieee_inexact 0
		.amdhsa_exception_int_div_zero 0
	.end_amdhsa_kernel
	.section	.text._Z11fill_kernelIfZ21hipblaslt_init_deviceIfEv8ABC_dims24hipblaslt_initializationbPT_mmmmmEUlmE_EvS4_mmT0_,"axG",@progbits,_Z11fill_kernelIfZ21hipblaslt_init_deviceIfEv8ABC_dims24hipblaslt_initializationbPT_mmmmmEUlmE_EvS4_mmT0_,comdat
.Lfunc_end0:
	.size	_Z11fill_kernelIfZ21hipblaslt_init_deviceIfEv8ABC_dims24hipblaslt_initializationbPT_mmmmmEUlmE_EvS4_mmT0_, .Lfunc_end0-_Z11fill_kernelIfZ21hipblaslt_init_deviceIfEv8ABC_dims24hipblaslt_initializationbPT_mmmmmEUlmE_EvS4_mmT0_
                                        ; -- End function
	.section	.AMDGPU.csdata,"",@progbits
; Kernel info:
; codeLenInByte = 420
; NumSgprs: 18
; NumVgprs: 6
; ScratchSize: 0
; MemoryBound: 0
; FloatMode: 240
; IeeeMode: 1
; LDSByteSize: 0 bytes/workgroup (compile time only)
; SGPRBlocks: 2
; VGPRBlocks: 0
; NumSGPRsForWavesPerEU: 18
; NumVGPRsForWavesPerEU: 6
; Occupancy: 16
; WaveLimiterHint : 0
; COMPUTE_PGM_RSRC2:SCRATCH_EN: 0
; COMPUTE_PGM_RSRC2:USER_SGPR: 15
; COMPUTE_PGM_RSRC2:TRAP_HANDLER: 0
; COMPUTE_PGM_RSRC2:TGID_X_EN: 1
; COMPUTE_PGM_RSRC2:TGID_Y_EN: 0
; COMPUTE_PGM_RSRC2:TGID_Z_EN: 0
; COMPUTE_PGM_RSRC2:TIDIG_COMP_CNT: 0
	.section	.text._Z11fill_kernelIfZ21hipblaslt_init_deviceIfEv8ABC_dims24hipblaslt_initializationbPT_mmmmmEUlmE0_EvS4_mmT0_,"axG",@progbits,_Z11fill_kernelIfZ21hipblaslt_init_deviceIfEv8ABC_dims24hipblaslt_initializationbPT_mmmmmEUlmE0_EvS4_mmT0_,comdat
	.protected	_Z11fill_kernelIfZ21hipblaslt_init_deviceIfEv8ABC_dims24hipblaslt_initializationbPT_mmmmmEUlmE0_EvS4_mmT0_ ; -- Begin function _Z11fill_kernelIfZ21hipblaslt_init_deviceIfEv8ABC_dims24hipblaslt_initializationbPT_mmmmmEUlmE0_EvS4_mmT0_
	.globl	_Z11fill_kernelIfZ21hipblaslt_init_deviceIfEv8ABC_dims24hipblaslt_initializationbPT_mmmmmEUlmE0_EvS4_mmT0_
	.p2align	8
	.type	_Z11fill_kernelIfZ21hipblaslt_init_deviceIfEv8ABC_dims24hipblaslt_initializationbPT_mmmmmEUlmE0_EvS4_mmT0_,@function
_Z11fill_kernelIfZ21hipblaslt_init_deviceIfEv8ABC_dims24hipblaslt_initializationbPT_mmmmmEUlmE0_EvS4_mmT0_: ; @_Z11fill_kernelIfZ21hipblaslt_init_deviceIfEv8ABC_dims24hipblaslt_initializationbPT_mmmmmEUlmE0_EvS4_mmT0_
; %bb.0:
	s_clause 0x1
	s_load_b32 s2, s[0:1], 0x2c
	s_load_b128 s[4:7], s[0:1], 0x0
	s_waitcnt lgkmcnt(0)
	s_and_b32 s2, s2, 0xffff
	s_delay_alu instid0(SALU_CYCLE_1) | instskip(SKIP_2) | instid1(VALU_DEP_1)
	v_mad_u64_u32 v[1:2], null, s15, s2, v[0:1]
	v_mov_b32_e32 v2, 0
	s_mov_b32 s2, exec_lo
	v_cmpx_gt_u64_e64 s[6:7], v[1:2]
	s_cbranch_execz .LBB1_2
; %bb.1:
	s_load_b64 s[0:1], s[0:1], 0x10
	s_mov_b32 s2, 0x19660d
	s_waitcnt lgkmcnt(0)
	v_add_co_u32 v0, s0, v1, s0
	s_delay_alu instid0(VALU_DEP_1) | instskip(NEXT) | instid1(VALU_DEP_2)
	v_add_co_ci_u32_e64 v1, null, 0, s1, s0
	v_mad_u64_u32 v[2:3], null, v0, s2, 0x3c6ef35f
	s_delay_alu instid0(VALU_DEP_1) | instskip(SKIP_1) | instid1(VALU_DEP_1)
	v_mad_u64_u32 v[4:5], null, 0x19660d, v1, v[3:4]
	v_lshlrev_b64 v[0:1], 2, v[0:1]
	v_add_co_u32 v0, vcc_lo, s4, v0
	s_delay_alu instid0(VALU_DEP_3) | instskip(NEXT) | instid1(VALU_DEP_3)
	v_mov_b32_e32 v3, v4
	v_add_co_ci_u32_e32 v1, vcc_lo, s5, v1, vcc_lo
	s_delay_alu instid0(VALU_DEP_2) | instskip(NEXT) | instid1(VALU_DEP_1)
	v_lshlrev_b64 v[4:5], 13, v[2:3]
	v_xor_b32_e32 v3, v5, v3
	s_delay_alu instid0(VALU_DEP_2) | instskip(NEXT) | instid1(VALU_DEP_1)
	v_xor_b32_e32 v2, v4, v2
	v_lshrrev_b64 v[4:5], 17, v[2:3]
	s_delay_alu instid0(VALU_DEP_1) | instskip(NEXT) | instid1(VALU_DEP_2)
	v_xor_b32_e32 v3, v5, v3
	v_xor_b32_e32 v2, v4, v2
	s_delay_alu instid0(VALU_DEP_1) | instskip(NEXT) | instid1(VALU_DEP_1)
	v_lshlrev_b64 v[4:5], 5, v[2:3]
	v_xor_b32_e32 v3, v5, v3
	s_delay_alu instid0(VALU_DEP_2) | instskip(NEXT) | instid1(VALU_DEP_1)
	v_xor_b32_e32 v2, v4, v2
	v_lshlrev_b64 v[4:5], 13, v[2:3]
	s_delay_alu instid0(VALU_DEP_1) | instskip(NEXT) | instid1(VALU_DEP_2)
	v_xor_b32_e32 v3, v5, v3
	v_xor_b32_e32 v2, v4, v2
	s_delay_alu instid0(VALU_DEP_1) | instskip(NEXT) | instid1(VALU_DEP_1)
	v_lshrrev_b64 v[4:5], 17, v[2:3]
	v_xor_b32_e32 v3, v5, v3
	s_delay_alu instid0(VALU_DEP_2) | instskip(NEXT) | instid1(VALU_DEP_1)
	v_xor_b32_e32 v2, v4, v2
	v_lshlrev_b64 v[4:5], 5, v[2:3]
	s_delay_alu instid0(VALU_DEP_1) | instskip(NEXT) | instid1(VALU_DEP_2)
	v_xor_b32_e32 v3, v5, v3
	v_xor_b32_e32 v2, v4, v2
	s_delay_alu instid0(VALU_DEP_1) | instskip(NEXT) | instid1(VALU_DEP_1)
	v_lshlrev_b64 v[4:5], 13, v[2:3]
	v_xor_b32_e32 v3, v5, v3
	s_delay_alu instid0(VALU_DEP_2) | instskip(NEXT) | instid1(VALU_DEP_1)
	v_xor_b32_e32 v2, v4, v2
	v_alignbit_b32 v3, v3, v2, 17
	s_delay_alu instid0(VALU_DEP_1) | instskip(NEXT) | instid1(VALU_DEP_1)
	v_xor_b32_e32 v2, v3, v2
	v_lshlrev_b32_e32 v3, 5, v2
	s_delay_alu instid0(VALU_DEP_1) | instskip(NEXT) | instid1(VALU_DEP_1)
	v_xor_b32_e32 v2, v3, v2
	v_mul_hi_u32 v3, 0xcccccccd, v2
	s_delay_alu instid0(VALU_DEP_1) | instskip(NEXT) | instid1(VALU_DEP_1)
	v_lshrrev_b32_e32 v3, 3, v3
	v_mul_lo_u32 v3, v3, 10
	s_delay_alu instid0(VALU_DEP_1) | instskip(NEXT) | instid1(VALU_DEP_1)
	v_sub_nc_u32_e32 v2, v2, v3
	v_add_nc_u32_e32 v2, 1, v2
	s_delay_alu instid0(VALU_DEP_1)
	v_cvt_f32_u32_e32 v2, v2
	global_store_b32 v[0:1], v2, off
.LBB1_2:
	s_nop 0
	s_sendmsg sendmsg(MSG_DEALLOC_VGPRS)
	s_endpgm
	.section	.rodata,"a",@progbits
	.p2align	6, 0x0
	.amdhsa_kernel _Z11fill_kernelIfZ21hipblaslt_init_deviceIfEv8ABC_dims24hipblaslt_initializationbPT_mmmmmEUlmE0_EvS4_mmT0_
		.amdhsa_group_segment_fixed_size 0
		.amdhsa_private_segment_fixed_size 0
		.amdhsa_kernarg_size 288
		.amdhsa_user_sgpr_count 15
		.amdhsa_user_sgpr_dispatch_ptr 0
		.amdhsa_user_sgpr_queue_ptr 0
		.amdhsa_user_sgpr_kernarg_segment_ptr 1
		.amdhsa_user_sgpr_dispatch_id 0
		.amdhsa_user_sgpr_private_segment_size 0
		.amdhsa_wavefront_size32 1
		.amdhsa_uses_dynamic_stack 0
		.amdhsa_enable_private_segment 0
		.amdhsa_system_sgpr_workgroup_id_x 1
		.amdhsa_system_sgpr_workgroup_id_y 0
		.amdhsa_system_sgpr_workgroup_id_z 0
		.amdhsa_system_sgpr_workgroup_info 0
		.amdhsa_system_vgpr_workitem_id 0
		.amdhsa_next_free_vgpr 6
		.amdhsa_next_free_sgpr 16
		.amdhsa_reserve_vcc 1
		.amdhsa_float_round_mode_32 0
		.amdhsa_float_round_mode_16_64 0
		.amdhsa_float_denorm_mode_32 3
		.amdhsa_float_denorm_mode_16_64 3
		.amdhsa_dx10_clamp 1
		.amdhsa_ieee_mode 1
		.amdhsa_fp16_overflow 0
		.amdhsa_workgroup_processor_mode 1
		.amdhsa_memory_ordered 1
		.amdhsa_forward_progress 0
		.amdhsa_shared_vgpr_count 0
		.amdhsa_exception_fp_ieee_invalid_op 0
		.amdhsa_exception_fp_denorm_src 0
		.amdhsa_exception_fp_ieee_div_zero 0
		.amdhsa_exception_fp_ieee_overflow 0
		.amdhsa_exception_fp_ieee_underflow 0
		.amdhsa_exception_fp_ieee_inexact 0
		.amdhsa_exception_int_div_zero 0
	.end_amdhsa_kernel
	.section	.text._Z11fill_kernelIfZ21hipblaslt_init_deviceIfEv8ABC_dims24hipblaslt_initializationbPT_mmmmmEUlmE0_EvS4_mmT0_,"axG",@progbits,_Z11fill_kernelIfZ21hipblaslt_init_deviceIfEv8ABC_dims24hipblaslt_initializationbPT_mmmmmEUlmE0_EvS4_mmT0_,comdat
.Lfunc_end1:
	.size	_Z11fill_kernelIfZ21hipblaslt_init_deviceIfEv8ABC_dims24hipblaslt_initializationbPT_mmmmmEUlmE0_EvS4_mmT0_, .Lfunc_end1-_Z11fill_kernelIfZ21hipblaslt_init_deviceIfEv8ABC_dims24hipblaslt_initializationbPT_mmmmmEUlmE0_EvS4_mmT0_
                                        ; -- End function
	.section	.AMDGPU.csdata,"",@progbits
; Kernel info:
; codeLenInByte = 412
; NumSgprs: 18
; NumVgprs: 6
; ScratchSize: 0
; MemoryBound: 0
; FloatMode: 240
; IeeeMode: 1
; LDSByteSize: 0 bytes/workgroup (compile time only)
; SGPRBlocks: 2
; VGPRBlocks: 0
; NumSGPRsForWavesPerEU: 18
; NumVGPRsForWavesPerEU: 6
; Occupancy: 16
; WaveLimiterHint : 0
; COMPUTE_PGM_RSRC2:SCRATCH_EN: 0
; COMPUTE_PGM_RSRC2:USER_SGPR: 15
; COMPUTE_PGM_RSRC2:TRAP_HANDLER: 0
; COMPUTE_PGM_RSRC2:TGID_X_EN: 1
; COMPUTE_PGM_RSRC2:TGID_Y_EN: 0
; COMPUTE_PGM_RSRC2:TGID_Z_EN: 0
; COMPUTE_PGM_RSRC2:TIDIG_COMP_CNT: 0
	.section	.text._Z11fill_kernelIfZ21hipblaslt_init_deviceIfEv8ABC_dims24hipblaslt_initializationbPT_mmmmmEUlmE1_EvS4_mmT0_,"axG",@progbits,_Z11fill_kernelIfZ21hipblaslt_init_deviceIfEv8ABC_dims24hipblaslt_initializationbPT_mmmmmEUlmE1_EvS4_mmT0_,comdat
	.protected	_Z11fill_kernelIfZ21hipblaslt_init_deviceIfEv8ABC_dims24hipblaslt_initializationbPT_mmmmmEUlmE1_EvS4_mmT0_ ; -- Begin function _Z11fill_kernelIfZ21hipblaslt_init_deviceIfEv8ABC_dims24hipblaslt_initializationbPT_mmmmmEUlmE1_EvS4_mmT0_
	.globl	_Z11fill_kernelIfZ21hipblaslt_init_deviceIfEv8ABC_dims24hipblaslt_initializationbPT_mmmmmEUlmE1_EvS4_mmT0_
	.p2align	8
	.type	_Z11fill_kernelIfZ21hipblaslt_init_deviceIfEv8ABC_dims24hipblaslt_initializationbPT_mmmmmEUlmE1_EvS4_mmT0_,@function
_Z11fill_kernelIfZ21hipblaslt_init_deviceIfEv8ABC_dims24hipblaslt_initializationbPT_mmmmmEUlmE1_EvS4_mmT0_: ; @_Z11fill_kernelIfZ21hipblaslt_init_deviceIfEv8ABC_dims24hipblaslt_initializationbPT_mmmmmEUlmE1_EvS4_mmT0_
; %bb.0:
	s_clause 0x1
	s_load_b32 s2, s[0:1], 0x34
	s_load_b128 s[4:7], s[0:1], 0x0
	s_waitcnt lgkmcnt(0)
	s_and_b32 s2, s2, 0xffff
	s_delay_alu instid0(SALU_CYCLE_1) | instskip(SKIP_2) | instid1(VALU_DEP_1)
	v_mad_u64_u32 v[1:2], null, s15, s2, v[0:1]
	v_mov_b32_e32 v2, 0
	s_mov_b32 s2, exec_lo
	v_cmpx_gt_u64_e64 s[6:7], v[1:2]
	s_cbranch_execz .LBB2_10
; %bb.1:
	s_clause 0x1
	s_load_b64 s[2:3], s[0:1], 0x10
	s_load_b128 s[8:11], s[0:1], 0x18
	s_waitcnt lgkmcnt(0)
	v_add_co_u32 v0, s0, v1, s2
	s_delay_alu instid0(VALU_DEP_1) | instskip(NEXT) | instid1(VALU_DEP_1)
	v_add_co_ci_u32_e64 v1, null, 0, s3, s0
	v_or_b32_e32 v3, s9, v1
	s_delay_alu instid0(VALU_DEP_1) | instskip(SKIP_1) | instid1(SALU_CYCLE_1)
	v_cmp_ne_u64_e32 vcc_lo, 0, v[2:3]
                                        ; implicit-def: $vgpr2_vgpr3
	s_and_saveexec_b32 s0, vcc_lo
	s_xor_b32 s1, exec_lo, s0
	s_cbranch_execz .LBB2_3
; %bb.2:
	v_cvt_f32_u32_e32 v2, s8
	v_cvt_f32_u32_e32 v3, s9
	s_sub_u32 s0, 0, s8
	s_subb_u32 s2, 0, s9
	s_delay_alu instid0(VALU_DEP_1) | instskip(NEXT) | instid1(VALU_DEP_1)
	v_fmamk_f32 v2, v3, 0x4f800000, v2
	v_rcp_f32_e32 v2, v2
	s_waitcnt_depctr 0xfff
	v_mul_f32_e32 v2, 0x5f7ffffc, v2
	s_delay_alu instid0(VALU_DEP_1) | instskip(NEXT) | instid1(VALU_DEP_1)
	v_mul_f32_e32 v3, 0x2f800000, v2
	v_trunc_f32_e32 v3, v3
	s_delay_alu instid0(VALU_DEP_1) | instskip(SKIP_1) | instid1(VALU_DEP_2)
	v_fmamk_f32 v2, v3, 0xcf800000, v2
	v_cvt_u32_f32_e32 v3, v3
	v_cvt_u32_f32_e32 v2, v2
	s_delay_alu instid0(VALU_DEP_2) | instskip(NEXT) | instid1(VALU_DEP_2)
	v_mul_lo_u32 v4, s0, v3
	v_mul_hi_u32 v5, s0, v2
	v_mul_lo_u32 v6, s2, v2
	s_delay_alu instid0(VALU_DEP_2) | instskip(SKIP_1) | instid1(VALU_DEP_2)
	v_add_nc_u32_e32 v4, v5, v4
	v_mul_lo_u32 v5, s0, v2
	v_add_nc_u32_e32 v4, v4, v6
	s_delay_alu instid0(VALU_DEP_2) | instskip(NEXT) | instid1(VALU_DEP_2)
	v_mul_hi_u32 v6, v2, v5
	v_mul_lo_u32 v7, v2, v4
	v_mul_hi_u32 v8, v2, v4
	v_mul_hi_u32 v9, v3, v5
	v_mul_lo_u32 v5, v3, v5
	v_mul_hi_u32 v10, v3, v4
	v_mul_lo_u32 v4, v3, v4
	v_add_co_u32 v6, vcc_lo, v6, v7
	v_add_co_ci_u32_e32 v7, vcc_lo, 0, v8, vcc_lo
	s_delay_alu instid0(VALU_DEP_2) | instskip(NEXT) | instid1(VALU_DEP_2)
	v_add_co_u32 v5, vcc_lo, v6, v5
	v_add_co_ci_u32_e32 v5, vcc_lo, v7, v9, vcc_lo
	v_add_co_ci_u32_e32 v6, vcc_lo, 0, v10, vcc_lo
	s_delay_alu instid0(VALU_DEP_2) | instskip(NEXT) | instid1(VALU_DEP_2)
	v_add_co_u32 v4, vcc_lo, v5, v4
	v_add_co_ci_u32_e32 v5, vcc_lo, 0, v6, vcc_lo
	s_delay_alu instid0(VALU_DEP_2) | instskip(NEXT) | instid1(VALU_DEP_2)
	v_add_co_u32 v2, vcc_lo, v2, v4
	v_add_co_ci_u32_e32 v3, vcc_lo, v3, v5, vcc_lo
	s_delay_alu instid0(VALU_DEP_2) | instskip(SKIP_1) | instid1(VALU_DEP_3)
	v_mul_hi_u32 v4, s0, v2
	v_mul_lo_u32 v6, s2, v2
	v_mul_lo_u32 v5, s0, v3
	s_delay_alu instid0(VALU_DEP_1) | instskip(SKIP_1) | instid1(VALU_DEP_2)
	v_add_nc_u32_e32 v4, v4, v5
	v_mul_lo_u32 v5, s0, v2
	v_add_nc_u32_e32 v4, v4, v6
	s_delay_alu instid0(VALU_DEP_2) | instskip(NEXT) | instid1(VALU_DEP_2)
	v_mul_hi_u32 v6, v2, v5
	v_mul_lo_u32 v7, v2, v4
	v_mul_hi_u32 v8, v2, v4
	v_mul_hi_u32 v9, v3, v5
	v_mul_lo_u32 v5, v3, v5
	v_mul_hi_u32 v10, v3, v4
	v_mul_lo_u32 v4, v3, v4
	v_add_co_u32 v6, vcc_lo, v6, v7
	v_add_co_ci_u32_e32 v7, vcc_lo, 0, v8, vcc_lo
	s_delay_alu instid0(VALU_DEP_2) | instskip(NEXT) | instid1(VALU_DEP_2)
	v_add_co_u32 v5, vcc_lo, v6, v5
	v_add_co_ci_u32_e32 v5, vcc_lo, v7, v9, vcc_lo
	v_add_co_ci_u32_e32 v6, vcc_lo, 0, v10, vcc_lo
	s_delay_alu instid0(VALU_DEP_2) | instskip(NEXT) | instid1(VALU_DEP_2)
	v_add_co_u32 v4, vcc_lo, v5, v4
	v_add_co_ci_u32_e32 v5, vcc_lo, 0, v6, vcc_lo
	s_delay_alu instid0(VALU_DEP_2) | instskip(NEXT) | instid1(VALU_DEP_2)
	v_add_co_u32 v6, vcc_lo, v2, v4
	v_add_co_ci_u32_e32 v8, vcc_lo, v3, v5, vcc_lo
	s_delay_alu instid0(VALU_DEP_2) | instskip(SKIP_1) | instid1(VALU_DEP_3)
	v_mul_hi_u32 v9, v0, v6
	v_mad_u64_u32 v[4:5], null, v1, v6, 0
	v_mad_u64_u32 v[2:3], null, v0, v8, 0
	;; [unrolled: 1-line block ×3, first 2 shown]
	s_delay_alu instid0(VALU_DEP_2) | instskip(NEXT) | instid1(VALU_DEP_3)
	v_add_co_u32 v2, vcc_lo, v9, v2
	v_add_co_ci_u32_e32 v3, vcc_lo, 0, v3, vcc_lo
	s_delay_alu instid0(VALU_DEP_2) | instskip(NEXT) | instid1(VALU_DEP_2)
	v_add_co_u32 v2, vcc_lo, v2, v4
	v_add_co_ci_u32_e32 v2, vcc_lo, v3, v5, vcc_lo
	v_add_co_ci_u32_e32 v3, vcc_lo, 0, v7, vcc_lo
	s_delay_alu instid0(VALU_DEP_2) | instskip(NEXT) | instid1(VALU_DEP_2)
	v_add_co_u32 v4, vcc_lo, v2, v6
	v_add_co_ci_u32_e32 v5, vcc_lo, 0, v3, vcc_lo
	s_delay_alu instid0(VALU_DEP_2) | instskip(SKIP_1) | instid1(VALU_DEP_3)
	v_mul_lo_u32 v6, s9, v4
	v_mad_u64_u32 v[2:3], null, s8, v4, 0
	v_mul_lo_u32 v4, s8, v5
	s_delay_alu instid0(VALU_DEP_2) | instskip(NEXT) | instid1(VALU_DEP_2)
	v_sub_co_u32 v2, vcc_lo, v0, v2
	v_add3_u32 v3, v3, v4, v6
	s_delay_alu instid0(VALU_DEP_1) | instskip(NEXT) | instid1(VALU_DEP_1)
	v_sub_nc_u32_e32 v4, v1, v3
	v_subrev_co_ci_u32_e64 v4, s0, s9, v4, vcc_lo
	v_sub_co_ci_u32_e32 v3, vcc_lo, v1, v3, vcc_lo
	v_sub_co_u32 v5, vcc_lo, v2, s8
	s_delay_alu instid0(VALU_DEP_1) | instskip(SKIP_3) | instid1(VALU_DEP_3)
	v_subrev_co_ci_u32_e64 v6, s0, 0, v4, vcc_lo
	v_cmp_le_u32_e64 s0, s8, v2
	v_subrev_co_ci_u32_e32 v4, vcc_lo, s9, v4, vcc_lo
	v_cmp_le_u32_e32 vcc_lo, s9, v3
	v_cndmask_b32_e64 v7, 0, -1, s0
	v_cmp_le_u32_e64 s0, s8, v5
	v_cndmask_b32_e64 v10, 0, -1, vcc_lo
	v_cmp_eq_u32_e32 vcc_lo, s9, v6
	s_delay_alu instid0(VALU_DEP_3) | instskip(SKIP_1) | instid1(VALU_DEP_1)
	v_cndmask_b32_e64 v8, 0, -1, s0
	v_cmp_le_u32_e64 s0, s9, v6
	v_cndmask_b32_e64 v9, 0, -1, s0
	v_cmp_eq_u32_e64 s0, s9, v3
	s_delay_alu instid0(VALU_DEP_2) | instskip(SKIP_2) | instid1(VALU_DEP_3)
	v_cndmask_b32_e32 v8, v9, v8, vcc_lo
	v_sub_co_u32 v9, vcc_lo, v5, s8
	v_subrev_co_ci_u32_e32 v4, vcc_lo, 0, v4, vcc_lo
	v_cmp_ne_u32_e32 vcc_lo, 0, v8
	v_cndmask_b32_e64 v7, v10, v7, s0
	s_delay_alu instid0(VALU_DEP_3) | instskip(NEXT) | instid1(VALU_DEP_2)
	v_dual_cndmask_b32 v4, v6, v4 :: v_dual_cndmask_b32 v5, v5, v9
	v_cmp_ne_u32_e32 vcc_lo, 0, v7
	s_delay_alu instid0(VALU_DEP_2)
	v_dual_cndmask_b32 v3, v3, v4 :: v_dual_cndmask_b32 v2, v2, v5
.LBB2_3:
	s_and_not1_saveexec_b32 s0, s1
	s_cbranch_execz .LBB2_5
; %bb.4:
	v_cvt_f32_u32_e32 v2, s8
	s_sub_i32 s1, 0, s8
	s_delay_alu instid0(VALU_DEP_1) | instskip(SKIP_2) | instid1(VALU_DEP_1)
	v_rcp_iflag_f32_e32 v2, v2
	s_waitcnt_depctr 0xfff
	v_mul_f32_e32 v2, 0x4f7ffffe, v2
	v_cvt_u32_f32_e32 v2, v2
	s_delay_alu instid0(VALU_DEP_1) | instskip(NEXT) | instid1(VALU_DEP_1)
	v_mul_lo_u32 v3, s1, v2
	v_mul_hi_u32 v3, v2, v3
	s_delay_alu instid0(VALU_DEP_1) | instskip(NEXT) | instid1(VALU_DEP_1)
	v_add_nc_u32_e32 v2, v2, v3
	v_mul_hi_u32 v2, v0, v2
	s_delay_alu instid0(VALU_DEP_1) | instskip(NEXT) | instid1(VALU_DEP_1)
	v_mul_lo_u32 v2, v2, s8
	v_sub_nc_u32_e32 v2, v0, v2
	s_delay_alu instid0(VALU_DEP_1) | instskip(SKIP_1) | instid1(VALU_DEP_2)
	v_subrev_nc_u32_e32 v3, s8, v2
	v_cmp_le_u32_e32 vcc_lo, s8, v2
	v_cndmask_b32_e32 v2, v2, v3, vcc_lo
	s_delay_alu instid0(VALU_DEP_1) | instskip(SKIP_1) | instid1(VALU_DEP_2)
	v_subrev_nc_u32_e32 v3, s8, v2
	v_cmp_le_u32_e32 vcc_lo, s8, v2
	v_dual_cndmask_b32 v2, v2, v3 :: v_dual_mov_b32 v3, 0
.LBB2_5:
	s_or_b32 exec_lo, exec_lo, s0
	s_delay_alu instid0(VALU_DEP_1) | instskip(SKIP_1) | instid1(VALU_DEP_1)
	v_or_b32_e32 v5, s11, v3
	v_mov_b32_e32 v4, 0
	v_cmp_ne_u64_e32 vcc_lo, 0, v[4:5]
                                        ; implicit-def: $vgpr4_vgpr5
	s_and_saveexec_b32 s0, vcc_lo
	s_delay_alu instid0(SALU_CYCLE_1)
	s_xor_b32 s1, exec_lo, s0
	s_cbranch_execz .LBB2_7
; %bb.6:
	v_cvt_f32_u32_e32 v4, s10
	v_cvt_f32_u32_e32 v5, s11
	s_sub_u32 s0, 0, s10
	s_subb_u32 s2, 0, s11
	s_delay_alu instid0(VALU_DEP_1) | instskip(NEXT) | instid1(VALU_DEP_1)
	v_fmamk_f32 v4, v5, 0x4f800000, v4
	v_rcp_f32_e32 v4, v4
	s_waitcnt_depctr 0xfff
	v_mul_f32_e32 v4, 0x5f7ffffc, v4
	s_delay_alu instid0(VALU_DEP_1) | instskip(NEXT) | instid1(VALU_DEP_1)
	v_mul_f32_e32 v5, 0x2f800000, v4
	v_trunc_f32_e32 v5, v5
	s_delay_alu instid0(VALU_DEP_1) | instskip(SKIP_1) | instid1(VALU_DEP_2)
	v_fmamk_f32 v4, v5, 0xcf800000, v4
	v_cvt_u32_f32_e32 v5, v5
	v_cvt_u32_f32_e32 v4, v4
	s_delay_alu instid0(VALU_DEP_2) | instskip(NEXT) | instid1(VALU_DEP_2)
	v_mul_lo_u32 v6, s0, v5
	v_mul_hi_u32 v7, s0, v4
	v_mul_lo_u32 v8, s2, v4
	s_delay_alu instid0(VALU_DEP_2) | instskip(SKIP_1) | instid1(VALU_DEP_2)
	v_add_nc_u32_e32 v6, v7, v6
	v_mul_lo_u32 v7, s0, v4
	v_add_nc_u32_e32 v6, v6, v8
	s_delay_alu instid0(VALU_DEP_2) | instskip(NEXT) | instid1(VALU_DEP_2)
	v_mul_hi_u32 v8, v4, v7
	v_mul_lo_u32 v9, v4, v6
	v_mul_hi_u32 v10, v4, v6
	v_mul_hi_u32 v11, v5, v7
	v_mul_lo_u32 v7, v5, v7
	v_mul_hi_u32 v12, v5, v6
	v_mul_lo_u32 v6, v5, v6
	v_add_co_u32 v8, vcc_lo, v8, v9
	v_add_co_ci_u32_e32 v9, vcc_lo, 0, v10, vcc_lo
	s_delay_alu instid0(VALU_DEP_2) | instskip(NEXT) | instid1(VALU_DEP_2)
	v_add_co_u32 v7, vcc_lo, v8, v7
	v_add_co_ci_u32_e32 v7, vcc_lo, v9, v11, vcc_lo
	v_add_co_ci_u32_e32 v8, vcc_lo, 0, v12, vcc_lo
	s_delay_alu instid0(VALU_DEP_2) | instskip(NEXT) | instid1(VALU_DEP_2)
	v_add_co_u32 v6, vcc_lo, v7, v6
	v_add_co_ci_u32_e32 v7, vcc_lo, 0, v8, vcc_lo
	s_delay_alu instid0(VALU_DEP_2) | instskip(NEXT) | instid1(VALU_DEP_2)
	v_add_co_u32 v4, vcc_lo, v4, v6
	v_add_co_ci_u32_e32 v5, vcc_lo, v5, v7, vcc_lo
	s_delay_alu instid0(VALU_DEP_2) | instskip(SKIP_1) | instid1(VALU_DEP_3)
	v_mul_hi_u32 v6, s0, v4
	v_mul_lo_u32 v8, s2, v4
	v_mul_lo_u32 v7, s0, v5
	s_delay_alu instid0(VALU_DEP_1) | instskip(SKIP_1) | instid1(VALU_DEP_2)
	v_add_nc_u32_e32 v6, v6, v7
	v_mul_lo_u32 v7, s0, v4
	v_add_nc_u32_e32 v6, v6, v8
	s_delay_alu instid0(VALU_DEP_2) | instskip(NEXT) | instid1(VALU_DEP_2)
	v_mul_hi_u32 v8, v4, v7
	v_mul_lo_u32 v9, v4, v6
	v_mul_hi_u32 v10, v4, v6
	v_mul_hi_u32 v11, v5, v7
	v_mul_lo_u32 v7, v5, v7
	v_mul_hi_u32 v12, v5, v6
	v_mul_lo_u32 v6, v5, v6
	v_add_co_u32 v8, vcc_lo, v8, v9
	v_add_co_ci_u32_e32 v9, vcc_lo, 0, v10, vcc_lo
	s_delay_alu instid0(VALU_DEP_2) | instskip(NEXT) | instid1(VALU_DEP_2)
	v_add_co_u32 v7, vcc_lo, v8, v7
	v_add_co_ci_u32_e32 v7, vcc_lo, v9, v11, vcc_lo
	v_add_co_ci_u32_e32 v8, vcc_lo, 0, v12, vcc_lo
	s_delay_alu instid0(VALU_DEP_2) | instskip(NEXT) | instid1(VALU_DEP_2)
	v_add_co_u32 v6, vcc_lo, v7, v6
	v_add_co_ci_u32_e32 v7, vcc_lo, 0, v8, vcc_lo
	s_delay_alu instid0(VALU_DEP_2) | instskip(NEXT) | instid1(VALU_DEP_2)
	v_add_co_u32 v8, vcc_lo, v4, v6
	v_add_co_ci_u32_e32 v10, vcc_lo, v5, v7, vcc_lo
	s_delay_alu instid0(VALU_DEP_2) | instskip(SKIP_1) | instid1(VALU_DEP_3)
	v_mul_hi_u32 v11, v2, v8
	v_mad_u64_u32 v[6:7], null, v3, v8, 0
	v_mad_u64_u32 v[4:5], null, v2, v10, 0
	;; [unrolled: 1-line block ×3, first 2 shown]
	s_delay_alu instid0(VALU_DEP_2) | instskip(NEXT) | instid1(VALU_DEP_3)
	v_add_co_u32 v4, vcc_lo, v11, v4
	v_add_co_ci_u32_e32 v5, vcc_lo, 0, v5, vcc_lo
	s_delay_alu instid0(VALU_DEP_2) | instskip(NEXT) | instid1(VALU_DEP_2)
	v_add_co_u32 v4, vcc_lo, v4, v6
	v_add_co_ci_u32_e32 v4, vcc_lo, v5, v7, vcc_lo
	v_add_co_ci_u32_e32 v5, vcc_lo, 0, v9, vcc_lo
	s_delay_alu instid0(VALU_DEP_2) | instskip(NEXT) | instid1(VALU_DEP_2)
	v_add_co_u32 v6, vcc_lo, v4, v8
	v_add_co_ci_u32_e32 v7, vcc_lo, 0, v5, vcc_lo
	s_delay_alu instid0(VALU_DEP_2) | instskip(SKIP_1) | instid1(VALU_DEP_3)
	v_mul_lo_u32 v8, s11, v6
	v_mad_u64_u32 v[4:5], null, s10, v6, 0
	v_mul_lo_u32 v7, s10, v7
	s_delay_alu instid0(VALU_DEP_2) | instskip(NEXT) | instid1(VALU_DEP_2)
	v_sub_co_u32 v4, vcc_lo, v2, v4
	v_add3_u32 v5, v5, v7, v8
	v_add_co_u32 v8, s0, v6, 2
	s_delay_alu instid0(VALU_DEP_2) | instskip(NEXT) | instid1(VALU_DEP_1)
	v_sub_nc_u32_e32 v7, v3, v5
	v_subrev_co_ci_u32_e64 v7, s0, s11, v7, vcc_lo
	v_sub_co_u32 v9, s0, v4, s10
	v_sub_co_ci_u32_e32 v3, vcc_lo, v3, v5, vcc_lo
	s_delay_alu instid0(VALU_DEP_3) | instskip(NEXT) | instid1(VALU_DEP_3)
	v_subrev_co_ci_u32_e64 v7, s0, 0, v7, s0
	v_cmp_le_u32_e32 vcc_lo, s10, v9
	v_cndmask_b32_e64 v5, 0, -1, vcc_lo
	s_delay_alu instid0(VALU_DEP_3)
	v_cmp_le_u32_e32 vcc_lo, s11, v7
	v_cndmask_b32_e64 v9, 0, -1, vcc_lo
	v_cmp_le_u32_e32 vcc_lo, s10, v4
	v_cndmask_b32_e64 v4, 0, -1, vcc_lo
	;; [unrolled: 2-line block ×3, first 2 shown]
	v_cmp_eq_u32_e32 vcc_lo, s11, v7
	v_cndmask_b32_e32 v5, v9, v5, vcc_lo
	v_add_co_u32 v7, vcc_lo, v6, 1
	v_cmp_eq_u32_e32 vcc_lo, s11, v3
	v_cndmask_b32_e32 v3, v10, v4, vcc_lo
	s_delay_alu instid0(VALU_DEP_4) | instskip(NEXT) | instid1(VALU_DEP_4)
	v_cmp_ne_u32_e32 vcc_lo, 0, v5
	v_cndmask_b32_e32 v4, v7, v8, vcc_lo
	s_delay_alu instid0(VALU_DEP_3) | instskip(NEXT) | instid1(VALU_DEP_2)
	v_cmp_ne_u32_e32 vcc_lo, 0, v3
	v_cndmask_b32_e32 v4, v6, v4, vcc_lo
.LBB2_7:
	s_and_not1_saveexec_b32 s0, s1
	s_cbranch_execz .LBB2_9
; %bb.8:
	v_cvt_f32_u32_e32 v3, s10
	s_sub_i32 s1, 0, s10
	s_delay_alu instid0(VALU_DEP_1) | instskip(SKIP_2) | instid1(VALU_DEP_1)
	v_rcp_iflag_f32_e32 v3, v3
	s_waitcnt_depctr 0xfff
	v_mul_f32_e32 v3, 0x4f7ffffe, v3
	v_cvt_u32_f32_e32 v3, v3
	s_delay_alu instid0(VALU_DEP_1) | instskip(NEXT) | instid1(VALU_DEP_1)
	v_mul_lo_u32 v4, s1, v3
	v_mul_hi_u32 v4, v3, v4
	s_delay_alu instid0(VALU_DEP_1) | instskip(NEXT) | instid1(VALU_DEP_1)
	v_add_nc_u32_e32 v3, v3, v4
	v_mul_hi_u32 v3, v2, v3
	s_delay_alu instid0(VALU_DEP_1) | instskip(SKIP_1) | instid1(VALU_DEP_2)
	v_mul_lo_u32 v4, v3, s10
	v_add_nc_u32_e32 v5, 1, v3
	v_sub_nc_u32_e32 v4, v2, v4
	s_delay_alu instid0(VALU_DEP_1) | instskip(SKIP_1) | instid1(VALU_DEP_2)
	v_subrev_nc_u32_e32 v6, s10, v4
	v_cmp_le_u32_e32 vcc_lo, s10, v4
	v_dual_cndmask_b32 v4, v4, v6 :: v_dual_cndmask_b32 v3, v3, v5
	s_delay_alu instid0(VALU_DEP_1) | instskip(NEXT) | instid1(VALU_DEP_2)
	v_cmp_le_u32_e32 vcc_lo, s10, v4
	v_add_nc_u32_e32 v5, 1, v3
	s_delay_alu instid0(VALU_DEP_1)
	v_cndmask_b32_e32 v4, v3, v5, vcc_lo
.LBB2_9:
	s_or_b32 exec_lo, exec_lo, s0
	s_mov_b32 s0, 0x19660d
	s_delay_alu instid0(SALU_CYCLE_1) | instskip(NEXT) | instid1(VALU_DEP_1)
	v_mad_u64_u32 v[5:6], null, v0, s0, 0x3c6ef35f
	v_mov_b32_e32 v3, v6
	s_delay_alu instid0(VALU_DEP_1) | instskip(SKIP_1) | instid1(VALU_DEP_2)
	v_mad_u64_u32 v[6:7], null, 0x19660d, v1, v[3:4]
	v_lshlrev_b64 v[0:1], 2, v[0:1]
	v_lshlrev_b64 v[7:8], 13, v[5:6]
	s_delay_alu instid0(VALU_DEP_1) | instskip(NEXT) | instid1(VALU_DEP_2)
	v_xor_b32_e32 v6, v8, v6
	v_xor_b32_e32 v5, v7, v5
	s_delay_alu instid0(VALU_DEP_1) | instskip(NEXT) | instid1(VALU_DEP_1)
	v_lshrrev_b64 v[7:8], 17, v[5:6]
	v_xor_b32_e32 v6, v8, v6
	s_delay_alu instid0(VALU_DEP_2) | instskip(NEXT) | instid1(VALU_DEP_1)
	v_xor_b32_e32 v5, v7, v5
	v_lshlrev_b64 v[7:8], 5, v[5:6]
	s_delay_alu instid0(VALU_DEP_1) | instskip(NEXT) | instid1(VALU_DEP_2)
	v_xor_b32_e32 v6, v8, v6
	v_xor_b32_e32 v5, v7, v5
	s_delay_alu instid0(VALU_DEP_1) | instskip(NEXT) | instid1(VALU_DEP_1)
	v_lshlrev_b64 v[7:8], 13, v[5:6]
	v_xor_b32_e32 v6, v8, v6
	s_delay_alu instid0(VALU_DEP_2) | instskip(NEXT) | instid1(VALU_DEP_1)
	v_xor_b32_e32 v5, v7, v5
	v_lshrrev_b64 v[7:8], 17, v[5:6]
	s_delay_alu instid0(VALU_DEP_1) | instskip(NEXT) | instid1(VALU_DEP_2)
	v_xor_b32_e32 v6, v8, v6
	v_xor_b32_e32 v5, v7, v5
	s_delay_alu instid0(VALU_DEP_1) | instskip(NEXT) | instid1(VALU_DEP_1)
	v_lshlrev_b64 v[7:8], 5, v[5:6]
	v_xor_b32_e32 v6, v8, v6
	s_delay_alu instid0(VALU_DEP_2) | instskip(NEXT) | instid1(VALU_DEP_1)
	v_xor_b32_e32 v5, v7, v5
	v_lshlrev_b64 v[7:8], 13, v[5:6]
	s_delay_alu instid0(VALU_DEP_1) | instskip(NEXT) | instid1(VALU_DEP_2)
	v_xor_b32_e32 v3, v8, v6
	v_xor_b32_e32 v5, v7, v5
	v_mul_lo_u32 v6, v4, s10
	s_delay_alu instid0(VALU_DEP_2) | instskip(NEXT) | instid1(VALU_DEP_2)
	v_alignbit_b32 v3, v3, v5, 17
	v_sub_nc_u32_e32 v2, v2, v6
	s_delay_alu instid0(VALU_DEP_2) | instskip(NEXT) | instid1(VALU_DEP_2)
	v_xor_b32_e32 v3, v3, v5
	v_xor_b32_e32 v2, v2, v4
	s_delay_alu instid0(VALU_DEP_2) | instskip(NEXT) | instid1(VALU_DEP_2)
	v_lshlrev_b32_e32 v5, 5, v3
	v_and_b32_e32 v2, 1, v2
	s_delay_alu instid0(VALU_DEP_2) | instskip(NEXT) | instid1(VALU_DEP_2)
	v_xor_b32_e32 v3, v5, v3
	v_cmp_eq_u32_e32 vcc_lo, 0, v2
	s_delay_alu instid0(VALU_DEP_2) | instskip(NEXT) | instid1(VALU_DEP_1)
	v_mul_hi_u32 v5, 0xcccccccd, v3
	v_lshrrev_b32_e32 v5, 3, v5
	s_delay_alu instid0(VALU_DEP_1) | instskip(NEXT) | instid1(VALU_DEP_1)
	v_mul_lo_u32 v5, v5, 10
	v_sub_nc_u32_e32 v3, v3, v5
	s_delay_alu instid0(VALU_DEP_1) | instskip(NEXT) | instid1(VALU_DEP_1)
	v_add_nc_u32_e32 v3, 1, v3
	v_cvt_f32_u32_e32 v3, v3
	s_delay_alu instid0(VALU_DEP_1)
	v_cndmask_b32_e64 v2, v3, -v3, vcc_lo
	v_add_co_u32 v0, vcc_lo, s4, v0
	v_add_co_ci_u32_e32 v1, vcc_lo, s5, v1, vcc_lo
	global_store_b32 v[0:1], v2, off
.LBB2_10:
	s_nop 0
	s_sendmsg sendmsg(MSG_DEALLOC_VGPRS)
	s_endpgm
	.section	.rodata,"a",@progbits
	.p2align	6, 0x0
	.amdhsa_kernel _Z11fill_kernelIfZ21hipblaslt_init_deviceIfEv8ABC_dims24hipblaslt_initializationbPT_mmmmmEUlmE1_EvS4_mmT0_
		.amdhsa_group_segment_fixed_size 0
		.amdhsa_private_segment_fixed_size 0
		.amdhsa_kernarg_size 296
		.amdhsa_user_sgpr_count 15
		.amdhsa_user_sgpr_dispatch_ptr 0
		.amdhsa_user_sgpr_queue_ptr 0
		.amdhsa_user_sgpr_kernarg_segment_ptr 1
		.amdhsa_user_sgpr_dispatch_id 0
		.amdhsa_user_sgpr_private_segment_size 0
		.amdhsa_wavefront_size32 1
		.amdhsa_uses_dynamic_stack 0
		.amdhsa_enable_private_segment 0
		.amdhsa_system_sgpr_workgroup_id_x 1
		.amdhsa_system_sgpr_workgroup_id_y 0
		.amdhsa_system_sgpr_workgroup_id_z 0
		.amdhsa_system_sgpr_workgroup_info 0
		.amdhsa_system_vgpr_workitem_id 0
		.amdhsa_next_free_vgpr 13
		.amdhsa_next_free_sgpr 16
		.amdhsa_reserve_vcc 1
		.amdhsa_float_round_mode_32 0
		.amdhsa_float_round_mode_16_64 0
		.amdhsa_float_denorm_mode_32 3
		.amdhsa_float_denorm_mode_16_64 3
		.amdhsa_dx10_clamp 1
		.amdhsa_ieee_mode 1
		.amdhsa_fp16_overflow 0
		.amdhsa_workgroup_processor_mode 1
		.amdhsa_memory_ordered 1
		.amdhsa_forward_progress 0
		.amdhsa_shared_vgpr_count 0
		.amdhsa_exception_fp_ieee_invalid_op 0
		.amdhsa_exception_fp_denorm_src 0
		.amdhsa_exception_fp_ieee_div_zero 0
		.amdhsa_exception_fp_ieee_overflow 0
		.amdhsa_exception_fp_ieee_underflow 0
		.amdhsa_exception_fp_ieee_inexact 0
		.amdhsa_exception_int_div_zero 0
	.end_amdhsa_kernel
	.section	.text._Z11fill_kernelIfZ21hipblaslt_init_deviceIfEv8ABC_dims24hipblaslt_initializationbPT_mmmmmEUlmE1_EvS4_mmT0_,"axG",@progbits,_Z11fill_kernelIfZ21hipblaslt_init_deviceIfEv8ABC_dims24hipblaslt_initializationbPT_mmmmmEUlmE1_EvS4_mmT0_,comdat
.Lfunc_end2:
	.size	_Z11fill_kernelIfZ21hipblaslt_init_deviceIfEv8ABC_dims24hipblaslt_initializationbPT_mmmmmEUlmE1_EvS4_mmT0_, .Lfunc_end2-_Z11fill_kernelIfZ21hipblaslt_init_deviceIfEv8ABC_dims24hipblaslt_initializationbPT_mmmmmEUlmE1_EvS4_mmT0_
                                        ; -- End function
	.section	.AMDGPU.csdata,"",@progbits
; Kernel info:
; codeLenInByte = 2240
; NumSgprs: 18
; NumVgprs: 13
; ScratchSize: 0
; MemoryBound: 0
; FloatMode: 240
; IeeeMode: 1
; LDSByteSize: 0 bytes/workgroup (compile time only)
; SGPRBlocks: 2
; VGPRBlocks: 1
; NumSGPRsForWavesPerEU: 18
; NumVGPRsForWavesPerEU: 13
; Occupancy: 16
; WaveLimiterHint : 0
; COMPUTE_PGM_RSRC2:SCRATCH_EN: 0
; COMPUTE_PGM_RSRC2:USER_SGPR: 15
; COMPUTE_PGM_RSRC2:TRAP_HANDLER: 0
; COMPUTE_PGM_RSRC2:TGID_X_EN: 1
; COMPUTE_PGM_RSRC2:TGID_Y_EN: 0
; COMPUTE_PGM_RSRC2:TGID_Z_EN: 0
; COMPUTE_PGM_RSRC2:TIDIG_COMP_CNT: 0
	.section	.text._Z11fill_kernelIfZ21hipblaslt_init_deviceIfEv8ABC_dims24hipblaslt_initializationbPT_mmmmmEUlmE2_EvS4_mmT0_,"axG",@progbits,_Z11fill_kernelIfZ21hipblaslt_init_deviceIfEv8ABC_dims24hipblaslt_initializationbPT_mmmmmEUlmE2_EvS4_mmT0_,comdat
	.protected	_Z11fill_kernelIfZ21hipblaslt_init_deviceIfEv8ABC_dims24hipblaslt_initializationbPT_mmmmmEUlmE2_EvS4_mmT0_ ; -- Begin function _Z11fill_kernelIfZ21hipblaslt_init_deviceIfEv8ABC_dims24hipblaslt_initializationbPT_mmmmmEUlmE2_EvS4_mmT0_
	.globl	_Z11fill_kernelIfZ21hipblaslt_init_deviceIfEv8ABC_dims24hipblaslt_initializationbPT_mmmmmEUlmE2_EvS4_mmT0_
	.p2align	8
	.type	_Z11fill_kernelIfZ21hipblaslt_init_deviceIfEv8ABC_dims24hipblaslt_initializationbPT_mmmmmEUlmE2_EvS4_mmT0_,@function
_Z11fill_kernelIfZ21hipblaslt_init_deviceIfEv8ABC_dims24hipblaslt_initializationbPT_mmmmmEUlmE2_EvS4_mmT0_: ; @_Z11fill_kernelIfZ21hipblaslt_init_deviceIfEv8ABC_dims24hipblaslt_initializationbPT_mmmmmEUlmE2_EvS4_mmT0_
; %bb.0:
	s_clause 0x1
	s_load_b32 s2, s[0:1], 0x44
	s_load_b128 s[16:19], s[0:1], 0x0
	s_waitcnt lgkmcnt(0)
	s_and_b32 s2, s2, 0xffff
	s_delay_alu instid0(SALU_CYCLE_1) | instskip(SKIP_2) | instid1(VALU_DEP_1)
	v_mad_u64_u32 v[1:2], null, s15, s2, v[0:1]
	v_mov_b32_e32 v2, 0
	s_mov_b32 s2, exec_lo
	v_cmpx_gt_u64_e64 s[18:19], v[1:2]
	s_cbranch_execz .LBB3_14
; %bb.1:
	s_clause 0x1
	s_load_b64 s[2:3], s[0:1], 0x10
	s_load_b256 s[4:11], s[0:1], 0x18
	s_waitcnt lgkmcnt(0)
	v_add_co_u32 v0, s0, v1, s2
	s_delay_alu instid0(VALU_DEP_1) | instskip(NEXT) | instid1(VALU_DEP_1)
	v_add_co_ci_u32_e64 v1, null, 0, s3, s0
	v_or_b32_e32 v3, s9, v1
	s_delay_alu instid0(VALU_DEP_1) | instskip(SKIP_1) | instid1(SALU_CYCLE_1)
	v_cmp_ne_u64_e32 vcc_lo, 0, v[2:3]
                                        ; implicit-def: $vgpr2_vgpr3
	s_and_saveexec_b32 s0, vcc_lo
	s_xor_b32 s1, exec_lo, s0
	s_cbranch_execz .LBB3_3
; %bb.2:
	v_cvt_f32_u32_e32 v2, s8
	v_cvt_f32_u32_e32 v3, s9
	s_sub_u32 s0, 0, s8
	s_subb_u32 s2, 0, s9
	s_delay_alu instid0(VALU_DEP_1) | instskip(NEXT) | instid1(VALU_DEP_1)
	v_fmamk_f32 v2, v3, 0x4f800000, v2
	v_rcp_f32_e32 v2, v2
	s_waitcnt_depctr 0xfff
	v_mul_f32_e32 v2, 0x5f7ffffc, v2
	s_delay_alu instid0(VALU_DEP_1) | instskip(NEXT) | instid1(VALU_DEP_1)
	v_mul_f32_e32 v3, 0x2f800000, v2
	v_trunc_f32_e32 v3, v3
	s_delay_alu instid0(VALU_DEP_1) | instskip(SKIP_1) | instid1(VALU_DEP_2)
	v_fmamk_f32 v2, v3, 0xcf800000, v2
	v_cvt_u32_f32_e32 v3, v3
	v_cvt_u32_f32_e32 v2, v2
	s_delay_alu instid0(VALU_DEP_2) | instskip(NEXT) | instid1(VALU_DEP_2)
	v_mul_lo_u32 v4, s0, v3
	v_mul_hi_u32 v5, s0, v2
	v_mul_lo_u32 v6, s2, v2
	s_delay_alu instid0(VALU_DEP_2) | instskip(SKIP_1) | instid1(VALU_DEP_2)
	v_add_nc_u32_e32 v4, v5, v4
	v_mul_lo_u32 v5, s0, v2
	v_add_nc_u32_e32 v4, v4, v6
	s_delay_alu instid0(VALU_DEP_2) | instskip(NEXT) | instid1(VALU_DEP_2)
	v_mul_hi_u32 v6, v2, v5
	v_mul_lo_u32 v7, v2, v4
	v_mul_hi_u32 v8, v2, v4
	v_mul_hi_u32 v9, v3, v5
	v_mul_lo_u32 v5, v3, v5
	v_mul_hi_u32 v10, v3, v4
	v_mul_lo_u32 v4, v3, v4
	v_add_co_u32 v6, vcc_lo, v6, v7
	v_add_co_ci_u32_e32 v7, vcc_lo, 0, v8, vcc_lo
	s_delay_alu instid0(VALU_DEP_2) | instskip(NEXT) | instid1(VALU_DEP_2)
	v_add_co_u32 v5, vcc_lo, v6, v5
	v_add_co_ci_u32_e32 v5, vcc_lo, v7, v9, vcc_lo
	v_add_co_ci_u32_e32 v6, vcc_lo, 0, v10, vcc_lo
	s_delay_alu instid0(VALU_DEP_2) | instskip(NEXT) | instid1(VALU_DEP_2)
	v_add_co_u32 v4, vcc_lo, v5, v4
	v_add_co_ci_u32_e32 v5, vcc_lo, 0, v6, vcc_lo
	s_delay_alu instid0(VALU_DEP_2) | instskip(NEXT) | instid1(VALU_DEP_2)
	v_add_co_u32 v2, vcc_lo, v2, v4
	v_add_co_ci_u32_e32 v3, vcc_lo, v3, v5, vcc_lo
	s_delay_alu instid0(VALU_DEP_2) | instskip(SKIP_1) | instid1(VALU_DEP_3)
	v_mul_hi_u32 v4, s0, v2
	v_mul_lo_u32 v6, s2, v2
	v_mul_lo_u32 v5, s0, v3
	s_delay_alu instid0(VALU_DEP_1) | instskip(SKIP_1) | instid1(VALU_DEP_2)
	v_add_nc_u32_e32 v4, v4, v5
	v_mul_lo_u32 v5, s0, v2
	v_add_nc_u32_e32 v4, v4, v6
	s_delay_alu instid0(VALU_DEP_2) | instskip(NEXT) | instid1(VALU_DEP_2)
	v_mul_hi_u32 v6, v2, v5
	v_mul_lo_u32 v7, v2, v4
	v_mul_hi_u32 v8, v2, v4
	v_mul_hi_u32 v9, v3, v5
	v_mul_lo_u32 v5, v3, v5
	v_mul_hi_u32 v10, v3, v4
	v_mul_lo_u32 v4, v3, v4
	v_add_co_u32 v6, vcc_lo, v6, v7
	v_add_co_ci_u32_e32 v7, vcc_lo, 0, v8, vcc_lo
	s_delay_alu instid0(VALU_DEP_2) | instskip(NEXT) | instid1(VALU_DEP_2)
	v_add_co_u32 v5, vcc_lo, v6, v5
	v_add_co_ci_u32_e32 v5, vcc_lo, v7, v9, vcc_lo
	v_add_co_ci_u32_e32 v6, vcc_lo, 0, v10, vcc_lo
	s_delay_alu instid0(VALU_DEP_2) | instskip(NEXT) | instid1(VALU_DEP_2)
	v_add_co_u32 v4, vcc_lo, v5, v4
	v_add_co_ci_u32_e32 v5, vcc_lo, 0, v6, vcc_lo
	s_delay_alu instid0(VALU_DEP_2) | instskip(NEXT) | instid1(VALU_DEP_2)
	v_add_co_u32 v6, vcc_lo, v2, v4
	v_add_co_ci_u32_e32 v8, vcc_lo, v3, v5, vcc_lo
	s_delay_alu instid0(VALU_DEP_2) | instskip(SKIP_1) | instid1(VALU_DEP_3)
	v_mul_hi_u32 v9, v0, v6
	v_mad_u64_u32 v[4:5], null, v1, v6, 0
	v_mad_u64_u32 v[2:3], null, v0, v8, 0
	;; [unrolled: 1-line block ×3, first 2 shown]
	s_delay_alu instid0(VALU_DEP_2) | instskip(NEXT) | instid1(VALU_DEP_3)
	v_add_co_u32 v2, vcc_lo, v9, v2
	v_add_co_ci_u32_e32 v3, vcc_lo, 0, v3, vcc_lo
	s_delay_alu instid0(VALU_DEP_2) | instskip(NEXT) | instid1(VALU_DEP_2)
	v_add_co_u32 v2, vcc_lo, v2, v4
	v_add_co_ci_u32_e32 v2, vcc_lo, v3, v5, vcc_lo
	v_add_co_ci_u32_e32 v3, vcc_lo, 0, v7, vcc_lo
	s_delay_alu instid0(VALU_DEP_2) | instskip(NEXT) | instid1(VALU_DEP_2)
	v_add_co_u32 v4, vcc_lo, v2, v6
	v_add_co_ci_u32_e32 v5, vcc_lo, 0, v3, vcc_lo
	s_delay_alu instid0(VALU_DEP_2) | instskip(SKIP_1) | instid1(VALU_DEP_3)
	v_mul_lo_u32 v6, s9, v4
	v_mad_u64_u32 v[2:3], null, s8, v4, 0
	v_mul_lo_u32 v7, s8, v5
	s_delay_alu instid0(VALU_DEP_2) | instskip(NEXT) | instid1(VALU_DEP_2)
	v_sub_co_u32 v2, vcc_lo, v0, v2
	v_add3_u32 v3, v3, v7, v6
	s_delay_alu instid0(VALU_DEP_1) | instskip(NEXT) | instid1(VALU_DEP_1)
	v_sub_nc_u32_e32 v6, v1, v3
	v_subrev_co_ci_u32_e64 v6, s0, s9, v6, vcc_lo
	v_add_co_u32 v7, s0, v4, 2
	s_delay_alu instid0(VALU_DEP_1) | instskip(SKIP_3) | instid1(VALU_DEP_3)
	v_add_co_ci_u32_e64 v8, s0, 0, v5, s0
	v_sub_co_u32 v9, s0, v2, s8
	v_sub_co_ci_u32_e32 v3, vcc_lo, v1, v3, vcc_lo
	v_subrev_co_ci_u32_e64 v6, s0, 0, v6, s0
	v_cmp_le_u32_e32 vcc_lo, s8, v9
	s_delay_alu instid0(VALU_DEP_3) | instskip(SKIP_1) | instid1(VALU_DEP_4)
	v_cmp_eq_u32_e64 s0, s9, v3
	v_cndmask_b32_e64 v9, 0, -1, vcc_lo
	v_cmp_le_u32_e32 vcc_lo, s9, v6
	v_cndmask_b32_e64 v10, 0, -1, vcc_lo
	v_cmp_le_u32_e32 vcc_lo, s8, v2
	;; [unrolled: 2-line block ×3, first 2 shown]
	v_cndmask_b32_e64 v11, 0, -1, vcc_lo
	v_cmp_eq_u32_e32 vcc_lo, s9, v6
	s_delay_alu instid0(VALU_DEP_2) | instskip(SKIP_3) | instid1(VALU_DEP_3)
	v_cndmask_b32_e64 v2, v11, v2, s0
	v_cndmask_b32_e32 v6, v10, v9, vcc_lo
	v_add_co_u32 v9, vcc_lo, v4, 1
	v_add_co_ci_u32_e32 v10, vcc_lo, 0, v5, vcc_lo
	v_cmp_ne_u32_e32 vcc_lo, 0, v6
	s_delay_alu instid0(VALU_DEP_2) | instskip(SKIP_1) | instid1(VALU_DEP_2)
	v_dual_cndmask_b32 v3, v10, v8 :: v_dual_cndmask_b32 v6, v9, v7
	v_cmp_ne_u32_e32 vcc_lo, 0, v2
	v_dual_cndmask_b32 v3, v5, v3 :: v_dual_cndmask_b32 v2, v4, v6
.LBB3_3:
	s_and_not1_saveexec_b32 s0, s1
	s_cbranch_execz .LBB3_5
; %bb.4:
	v_cvt_f32_u32_e32 v2, s8
	s_sub_i32 s1, 0, s8
	s_delay_alu instid0(VALU_DEP_1) | instskip(SKIP_2) | instid1(VALU_DEP_1)
	v_rcp_iflag_f32_e32 v2, v2
	s_waitcnt_depctr 0xfff
	v_mul_f32_e32 v2, 0x4f7ffffe, v2
	v_cvt_u32_f32_e32 v2, v2
	s_delay_alu instid0(VALU_DEP_1) | instskip(NEXT) | instid1(VALU_DEP_1)
	v_mul_lo_u32 v3, s1, v2
	v_mul_hi_u32 v3, v2, v3
	s_delay_alu instid0(VALU_DEP_1) | instskip(NEXT) | instid1(VALU_DEP_1)
	v_add_nc_u32_e32 v2, v2, v3
	v_mul_hi_u32 v2, v0, v2
	s_delay_alu instid0(VALU_DEP_1) | instskip(SKIP_1) | instid1(VALU_DEP_2)
	v_mul_lo_u32 v3, v2, s8
	v_add_nc_u32_e32 v4, 1, v2
	v_sub_nc_u32_e32 v3, v0, v3
	s_delay_alu instid0(VALU_DEP_1) | instskip(SKIP_1) | instid1(VALU_DEP_2)
	v_subrev_nc_u32_e32 v5, s8, v3
	v_cmp_le_u32_e32 vcc_lo, s8, v3
	v_dual_cndmask_b32 v3, v3, v5 :: v_dual_cndmask_b32 v2, v2, v4
	s_delay_alu instid0(VALU_DEP_1) | instskip(NEXT) | instid1(VALU_DEP_2)
	v_cmp_le_u32_e32 vcc_lo, s8, v3
	v_dual_mov_b32 v3, 0 :: v_dual_add_nc_u32 v4, 1, v2
	s_delay_alu instid0(VALU_DEP_1)
	v_cndmask_b32_e32 v2, v2, v4, vcc_lo
.LBB3_5:
	s_or_b32 exec_lo, exec_lo, s0
	s_delay_alu instid0(VALU_DEP_1) | instskip(NEXT) | instid1(VALU_DEP_2)
	v_mul_lo_u32 v6, v3, s8
	v_mul_lo_u32 v7, v2, s9
	v_mad_u64_u32 v[4:5], null, v2, s8, 0
	s_delay_alu instid0(VALU_DEP_1) | instskip(NEXT) | instid1(VALU_DEP_2)
	v_add3_u32 v5, v5, v7, v6
	v_sub_co_u32 v6, vcc_lo, v0, v4
	v_mov_b32_e32 v4, 0
	s_delay_alu instid0(VALU_DEP_3) | instskip(NEXT) | instid1(VALU_DEP_1)
	v_sub_co_ci_u32_e32 v7, vcc_lo, v1, v5, vcc_lo
	v_or_b32_e32 v5, s11, v7
	s_delay_alu instid0(VALU_DEP_1) | instskip(SKIP_1) | instid1(SALU_CYCLE_1)
	v_cmp_ne_u64_e32 vcc_lo, 0, v[4:5]
                                        ; implicit-def: $vgpr4_vgpr5
	s_and_saveexec_b32 s0, vcc_lo
	s_xor_b32 s1, exec_lo, s0
	s_cbranch_execz .LBB3_7
; %bb.6:
	v_cvt_f32_u32_e32 v4, s10
	v_cvt_f32_u32_e32 v5, s11
	s_sub_u32 s0, 0, s10
	s_subb_u32 s2, 0, s11
	s_delay_alu instid0(VALU_DEP_1) | instskip(NEXT) | instid1(VALU_DEP_1)
	v_fmamk_f32 v4, v5, 0x4f800000, v4
	v_rcp_f32_e32 v4, v4
	s_waitcnt_depctr 0xfff
	v_mul_f32_e32 v4, 0x5f7ffffc, v4
	s_delay_alu instid0(VALU_DEP_1) | instskip(NEXT) | instid1(VALU_DEP_1)
	v_mul_f32_e32 v5, 0x2f800000, v4
	v_trunc_f32_e32 v5, v5
	s_delay_alu instid0(VALU_DEP_1) | instskip(SKIP_1) | instid1(VALU_DEP_2)
	v_fmamk_f32 v4, v5, 0xcf800000, v4
	v_cvt_u32_f32_e32 v5, v5
	v_cvt_u32_f32_e32 v4, v4
	s_delay_alu instid0(VALU_DEP_2) | instskip(NEXT) | instid1(VALU_DEP_2)
	v_mul_lo_u32 v8, s0, v5
	v_mul_hi_u32 v9, s0, v4
	v_mul_lo_u32 v10, s2, v4
	s_delay_alu instid0(VALU_DEP_2) | instskip(SKIP_1) | instid1(VALU_DEP_2)
	v_add_nc_u32_e32 v8, v9, v8
	v_mul_lo_u32 v9, s0, v4
	v_add_nc_u32_e32 v8, v8, v10
	s_delay_alu instid0(VALU_DEP_2) | instskip(NEXT) | instid1(VALU_DEP_2)
	v_mul_hi_u32 v10, v4, v9
	v_mul_lo_u32 v11, v4, v8
	v_mul_hi_u32 v12, v4, v8
	v_mul_hi_u32 v13, v5, v9
	v_mul_lo_u32 v9, v5, v9
	v_mul_hi_u32 v14, v5, v8
	v_mul_lo_u32 v8, v5, v8
	v_add_co_u32 v10, vcc_lo, v10, v11
	v_add_co_ci_u32_e32 v11, vcc_lo, 0, v12, vcc_lo
	s_delay_alu instid0(VALU_DEP_2) | instskip(NEXT) | instid1(VALU_DEP_2)
	v_add_co_u32 v9, vcc_lo, v10, v9
	v_add_co_ci_u32_e32 v9, vcc_lo, v11, v13, vcc_lo
	v_add_co_ci_u32_e32 v10, vcc_lo, 0, v14, vcc_lo
	s_delay_alu instid0(VALU_DEP_2) | instskip(NEXT) | instid1(VALU_DEP_2)
	v_add_co_u32 v8, vcc_lo, v9, v8
	v_add_co_ci_u32_e32 v9, vcc_lo, 0, v10, vcc_lo
	s_delay_alu instid0(VALU_DEP_2) | instskip(NEXT) | instid1(VALU_DEP_2)
	v_add_co_u32 v4, vcc_lo, v4, v8
	v_add_co_ci_u32_e32 v5, vcc_lo, v5, v9, vcc_lo
	s_delay_alu instid0(VALU_DEP_2) | instskip(SKIP_1) | instid1(VALU_DEP_3)
	v_mul_hi_u32 v8, s0, v4
	v_mul_lo_u32 v10, s2, v4
	v_mul_lo_u32 v9, s0, v5
	s_delay_alu instid0(VALU_DEP_1) | instskip(SKIP_1) | instid1(VALU_DEP_2)
	v_add_nc_u32_e32 v8, v8, v9
	v_mul_lo_u32 v9, s0, v4
	v_add_nc_u32_e32 v8, v8, v10
	s_delay_alu instid0(VALU_DEP_2) | instskip(NEXT) | instid1(VALU_DEP_2)
	v_mul_hi_u32 v10, v4, v9
	v_mul_lo_u32 v11, v4, v8
	v_mul_hi_u32 v12, v4, v8
	v_mul_hi_u32 v13, v5, v9
	v_mul_lo_u32 v9, v5, v9
	v_mul_hi_u32 v14, v5, v8
	v_mul_lo_u32 v8, v5, v8
	v_add_co_u32 v10, vcc_lo, v10, v11
	v_add_co_ci_u32_e32 v11, vcc_lo, 0, v12, vcc_lo
	s_delay_alu instid0(VALU_DEP_2) | instskip(NEXT) | instid1(VALU_DEP_2)
	v_add_co_u32 v9, vcc_lo, v10, v9
	v_add_co_ci_u32_e32 v9, vcc_lo, v11, v13, vcc_lo
	v_add_co_ci_u32_e32 v10, vcc_lo, 0, v14, vcc_lo
	s_delay_alu instid0(VALU_DEP_2) | instskip(NEXT) | instid1(VALU_DEP_2)
	v_add_co_u32 v8, vcc_lo, v9, v8
	v_add_co_ci_u32_e32 v9, vcc_lo, 0, v10, vcc_lo
	s_delay_alu instid0(VALU_DEP_2) | instskip(NEXT) | instid1(VALU_DEP_2)
	v_add_co_u32 v10, vcc_lo, v4, v8
	v_add_co_ci_u32_e32 v12, vcc_lo, v5, v9, vcc_lo
	s_delay_alu instid0(VALU_DEP_2) | instskip(SKIP_1) | instid1(VALU_DEP_3)
	v_mul_hi_u32 v13, v6, v10
	v_mad_u64_u32 v[8:9], null, v7, v10, 0
	v_mad_u64_u32 v[4:5], null, v6, v12, 0
	;; [unrolled: 1-line block ×3, first 2 shown]
	s_delay_alu instid0(VALU_DEP_2) | instskip(NEXT) | instid1(VALU_DEP_3)
	v_add_co_u32 v4, vcc_lo, v13, v4
	v_add_co_ci_u32_e32 v5, vcc_lo, 0, v5, vcc_lo
	s_delay_alu instid0(VALU_DEP_2) | instskip(NEXT) | instid1(VALU_DEP_2)
	v_add_co_u32 v4, vcc_lo, v4, v8
	v_add_co_ci_u32_e32 v4, vcc_lo, v5, v9, vcc_lo
	v_add_co_ci_u32_e32 v5, vcc_lo, 0, v11, vcc_lo
	s_delay_alu instid0(VALU_DEP_2) | instskip(NEXT) | instid1(VALU_DEP_2)
	v_add_co_u32 v8, vcc_lo, v4, v10
	v_add_co_ci_u32_e32 v9, vcc_lo, 0, v5, vcc_lo
	s_delay_alu instid0(VALU_DEP_2) | instskip(SKIP_1) | instid1(VALU_DEP_3)
	v_mul_lo_u32 v10, s11, v8
	v_mad_u64_u32 v[4:5], null, s10, v8, 0
	v_mul_lo_u32 v11, s10, v9
	s_delay_alu instid0(VALU_DEP_2) | instskip(NEXT) | instid1(VALU_DEP_2)
	v_sub_co_u32 v4, vcc_lo, v6, v4
	v_add3_u32 v5, v5, v11, v10
	s_delay_alu instid0(VALU_DEP_1) | instskip(NEXT) | instid1(VALU_DEP_1)
	v_sub_nc_u32_e32 v10, v7, v5
	v_subrev_co_ci_u32_e64 v10, s0, s11, v10, vcc_lo
	v_add_co_u32 v11, s0, v8, 2
	s_delay_alu instid0(VALU_DEP_1) | instskip(SKIP_3) | instid1(VALU_DEP_3)
	v_add_co_ci_u32_e64 v12, s0, 0, v9, s0
	v_sub_co_u32 v13, s0, v4, s10
	v_sub_co_ci_u32_e32 v5, vcc_lo, v7, v5, vcc_lo
	v_subrev_co_ci_u32_e64 v10, s0, 0, v10, s0
	v_cmp_le_u32_e32 vcc_lo, s10, v13
	s_delay_alu instid0(VALU_DEP_3) | instskip(SKIP_1) | instid1(VALU_DEP_4)
	v_cmp_eq_u32_e64 s0, s11, v5
	v_cndmask_b32_e64 v13, 0, -1, vcc_lo
	v_cmp_le_u32_e32 vcc_lo, s11, v10
	v_cndmask_b32_e64 v14, 0, -1, vcc_lo
	v_cmp_le_u32_e32 vcc_lo, s10, v4
	;; [unrolled: 2-line block ×3, first 2 shown]
	v_cndmask_b32_e64 v15, 0, -1, vcc_lo
	v_cmp_eq_u32_e32 vcc_lo, s11, v10
	s_delay_alu instid0(VALU_DEP_2) | instskip(SKIP_3) | instid1(VALU_DEP_3)
	v_cndmask_b32_e64 v4, v15, v4, s0
	v_cndmask_b32_e32 v10, v14, v13, vcc_lo
	v_add_co_u32 v13, vcc_lo, v8, 1
	v_add_co_ci_u32_e32 v14, vcc_lo, 0, v9, vcc_lo
	v_cmp_ne_u32_e32 vcc_lo, 0, v10
	s_delay_alu instid0(VALU_DEP_2) | instskip(SKIP_1) | instid1(VALU_DEP_2)
	v_dual_cndmask_b32 v5, v14, v12 :: v_dual_cndmask_b32 v10, v13, v11
	v_cmp_ne_u32_e32 vcc_lo, 0, v4
	v_dual_cndmask_b32 v5, v9, v5 :: v_dual_cndmask_b32 v4, v8, v10
.LBB3_7:
	s_and_not1_saveexec_b32 s0, s1
	s_cbranch_execz .LBB3_9
; %bb.8:
	v_cvt_f32_u32_e32 v4, s10
	s_sub_i32 s1, 0, s10
	s_delay_alu instid0(VALU_DEP_1) | instskip(SKIP_2) | instid1(VALU_DEP_1)
	v_rcp_iflag_f32_e32 v4, v4
	s_waitcnt_depctr 0xfff
	v_mul_f32_e32 v4, 0x4f7ffffe, v4
	v_cvt_u32_f32_e32 v4, v4
	s_delay_alu instid0(VALU_DEP_1) | instskip(NEXT) | instid1(VALU_DEP_1)
	v_mul_lo_u32 v5, s1, v4
	v_mul_hi_u32 v5, v4, v5
	s_delay_alu instid0(VALU_DEP_1) | instskip(NEXT) | instid1(VALU_DEP_1)
	v_add_nc_u32_e32 v4, v4, v5
	v_mul_hi_u32 v4, v6, v4
	s_delay_alu instid0(VALU_DEP_1) | instskip(SKIP_1) | instid1(VALU_DEP_2)
	v_mul_lo_u32 v5, v4, s10
	v_add_nc_u32_e32 v8, 1, v4
	v_sub_nc_u32_e32 v5, v6, v5
	s_delay_alu instid0(VALU_DEP_1) | instskip(SKIP_1) | instid1(VALU_DEP_2)
	v_subrev_nc_u32_e32 v9, s10, v5
	v_cmp_le_u32_e32 vcc_lo, s10, v5
	v_dual_cndmask_b32 v5, v5, v9 :: v_dual_cndmask_b32 v4, v4, v8
	s_delay_alu instid0(VALU_DEP_1) | instskip(NEXT) | instid1(VALU_DEP_2)
	v_cmp_le_u32_e32 vcc_lo, s10, v5
	v_dual_mov_b32 v5, 0 :: v_dual_add_nc_u32 v8, 1, v4
	s_delay_alu instid0(VALU_DEP_1)
	v_cndmask_b32_e32 v4, v4, v8, vcc_lo
.LBB3_9:
	s_or_b32 exec_lo, exec_lo, s0
	s_delay_alu instid0(VALU_DEP_1) | instskip(NEXT) | instid1(VALU_DEP_2)
	v_mul_lo_u32 v12, v5, s10
	v_mul_lo_u32 v13, v4, s11
	v_mad_u64_u32 v[8:9], null, v4, s10, 0
	v_mad_u64_u32 v[10:11], null, v2, s6, v[4:5]
	v_mul_lo_u32 v2, v2, s7
	v_mul_lo_u32 v3, v3, s6
	s_delay_alu instid0(VALU_DEP_4) | instskip(NEXT) | instid1(VALU_DEP_2)
	v_add3_u32 v4, v9, v13, v12
	v_add3_u32 v5, v3, v11, v2
	v_sub_co_u32 v2, vcc_lo, v6, v8
	s_delay_alu instid0(VALU_DEP_3) | instskip(SKIP_1) | instid1(VALU_DEP_4)
	v_sub_co_ci_u32_e32 v3, vcc_lo, v7, v4, vcc_lo
	v_mul_lo_u32 v6, v10, s5
	v_mul_lo_u32 v7, v5, s4
                                        ; implicit-def: $vgpr8
	s_delay_alu instid0(VALU_DEP_3) | instskip(NEXT) | instid1(VALU_DEP_1)
	v_mad_u64_u32 v[4:5], null, v10, s4, v[2:3]
	v_add3_u32 v5, v7, v5, v6
	s_delay_alu instid0(VALU_DEP_2) | instskip(NEXT) | instid1(VALU_DEP_2)
	v_cvt_f64_u32_e32 v[6:7], v4
	v_cvt_f64_u32_e32 v[2:3], v5
	v_cmp_lt_u64_e32 vcc_lo, 0x3fffffff, v[4:5]
                                        ; implicit-def: $vgpr4_vgpr5
	s_delay_alu instid0(VALU_DEP_2) | instskip(NEXT) | instid1(VALU_DEP_1)
	v_ldexp_f64 v[2:3], v[2:3], 32
	v_add_f64 v[2:3], v[2:3], v[6:7]
                                        ; implicit-def: $vgpr6_vgpr7
	s_and_saveexec_b32 s0, vcc_lo
	s_delay_alu instid0(SALU_CYCLE_1)
	s_xor_b32 s1, exec_lo, s0
	s_cbranch_execz .LBB3_11
; %bb.10:
	s_delay_alu instid0(VALU_DEP_1)
	v_trig_preop_f64 v[4:5], v[2:3], 0
	v_trig_preop_f64 v[6:7], v[2:3], 1
	;; [unrolled: 1-line block ×3, first 2 shown]
	v_mov_b32_e32 v24, 0
	s_mov_b32 s2, 0x54442d18
	s_mov_b32 s3, 0x3ff921fb
	;; [unrolled: 1-line block ×4, first 2 shown]
	s_delay_alu instid0(VALU_DEP_4) | instskip(NEXT) | instid1(VALU_DEP_4)
	v_mul_f64 v[8:9], v[4:5], v[2:3]
	v_mul_f64 v[10:11], v[6:7], v[2:3]
	s_delay_alu instid0(VALU_DEP_4) | instskip(NEXT) | instid1(VALU_DEP_3)
	v_mul_f64 v[22:23], v[16:17], v[2:3]
	v_fma_f64 v[4:5], v[4:5], v[2:3], -v[8:9]
	s_delay_alu instid0(VALU_DEP_3) | instskip(NEXT) | instid1(VALU_DEP_3)
	v_fma_f64 v[6:7], v[6:7], v[2:3], -v[10:11]
	v_fma_f64 v[16:17], v[16:17], v[2:3], -v[22:23]
	s_delay_alu instid0(VALU_DEP_3) | instskip(NEXT) | instid1(VALU_DEP_1)
	v_add_f64 v[12:13], v[10:11], v[4:5]
	v_add_f64 v[14:15], v[12:13], -v[10:11]
	v_add_f64 v[20:21], v[8:9], v[12:13]
	s_delay_alu instid0(VALU_DEP_2) | instskip(SKIP_1) | instid1(VALU_DEP_3)
	v_add_f64 v[18:19], v[12:13], -v[14:15]
	v_add_f64 v[4:5], v[4:5], -v[14:15]
	v_ldexp_f64 v[14:15], v[20:21], -2
	v_add_f64 v[8:9], v[20:21], -v[8:9]
	s_delay_alu instid0(VALU_DEP_4) | instskip(SKIP_1) | instid1(VALU_DEP_4)
	v_add_f64 v[10:11], v[10:11], -v[18:19]
	v_add_f64 v[18:19], v[22:23], v[6:7]
	v_cmp_neq_f64_e64 vcc_lo, 0x7ff00000, |v[14:15]|
	s_delay_alu instid0(VALU_DEP_4) | instskip(NEXT) | instid1(VALU_DEP_4)
	v_add_f64 v[8:9], v[12:13], -v[8:9]
	v_add_f64 v[4:5], v[4:5], v[10:11]
	v_fract_f64_e32 v[10:11], v[14:15]
	s_delay_alu instid0(VALU_DEP_2) | instskip(NEXT) | instid1(VALU_DEP_2)
	v_add_f64 v[12:13], v[18:19], v[4:5]
	v_dual_cndmask_b32 v11, 0, v11 :: v_dual_cndmask_b32 v10, 0, v10
	s_delay_alu instid0(VALU_DEP_1) | instskip(NEXT) | instid1(VALU_DEP_3)
	v_ldexp_f64 v[10:11], v[10:11], 2
	v_add_f64 v[14:15], v[8:9], v[12:13]
	s_delay_alu instid0(VALU_DEP_1) | instskip(SKIP_1) | instid1(VALU_DEP_2)
	v_add_f64 v[20:21], v[14:15], v[10:11]
	v_add_f64 v[8:9], v[14:15], -v[8:9]
	v_cmp_gt_f64_e32 vcc_lo, 0, v[20:21]
	v_add_f64 v[20:21], v[18:19], -v[22:23]
	s_delay_alu instid0(VALU_DEP_3) | instskip(SKIP_1) | instid1(VALU_DEP_3)
	v_add_f64 v[8:9], v[12:13], -v[8:9]
	v_cndmask_b32_e64 v25, 0, 0x40100000, vcc_lo
	v_add_f64 v[29:30], v[18:19], -v[20:21]
	v_add_f64 v[6:7], v[6:7], -v[20:21]
	s_delay_alu instid0(VALU_DEP_3) | instskip(SKIP_1) | instid1(VALU_DEP_4)
	v_add_f64 v[10:11], v[10:11], v[24:25]
	v_add_f64 v[25:26], v[12:13], -v[18:19]
	v_add_f64 v[20:21], v[22:23], -v[29:30]
	s_delay_alu instid0(VALU_DEP_3) | instskip(NEXT) | instid1(VALU_DEP_3)
	v_add_f64 v[27:28], v[14:15], v[10:11]
	v_add_f64 v[31:32], v[12:13], -v[25:26]
	v_add_f64 v[4:5], v[4:5], -v[25:26]
	s_delay_alu instid0(VALU_DEP_4) | instskip(NEXT) | instid1(VALU_DEP_4)
	v_add_f64 v[6:7], v[6:7], v[20:21]
	v_cvt_i32_f64_e32 v27, v[27:28]
	s_delay_alu instid0(VALU_DEP_4) | instskip(NEXT) | instid1(VALU_DEP_2)
	v_add_f64 v[18:19], v[18:19], -v[31:32]
	v_cvt_f64_i32_e32 v[25:26], v27
	s_delay_alu instid0(VALU_DEP_2) | instskip(NEXT) | instid1(VALU_DEP_2)
	v_add_f64 v[4:5], v[4:5], v[18:19]
	v_add_f64 v[10:11], v[10:11], -v[25:26]
	s_delay_alu instid0(VALU_DEP_2) | instskip(NEXT) | instid1(VALU_DEP_2)
	v_add_f64 v[4:5], v[6:7], v[4:5]
	v_add_f64 v[6:7], v[14:15], v[10:11]
	s_delay_alu instid0(VALU_DEP_2) | instskip(NEXT) | instid1(VALU_DEP_2)
	v_add_f64 v[4:5], v[16:17], v[4:5]
	v_add_f64 v[10:11], v[6:7], -v[10:11]
	v_cmp_le_f64_e32 vcc_lo, 0.5, v[6:7]
	s_delay_alu instid0(VALU_DEP_3) | instskip(NEXT) | instid1(VALU_DEP_3)
	v_add_f64 v[4:5], v[8:9], v[4:5]
	v_add_f64 v[9:10], v[14:15], -v[10:11]
	v_cndmask_b32_e64 v25, 0, 0x3ff00000, vcc_lo
	v_add_co_ci_u32_e64 v8, s0, 0, v27, vcc_lo
	s_delay_alu instid0(VALU_DEP_2) | instskip(NEXT) | instid1(VALU_DEP_4)
	v_add_f64 v[6:7], v[6:7], -v[24:25]
	v_add_f64 v[4:5], v[4:5], v[9:10]
	s_delay_alu instid0(VALU_DEP_1) | instskip(NEXT) | instid1(VALU_DEP_1)
	v_add_f64 v[9:10], v[6:7], v[4:5]
	v_mul_f64 v[11:12], v[9:10], s[2:3]
	v_add_f64 v[6:7], v[9:10], -v[6:7]
	s_delay_alu instid0(VALU_DEP_2) | instskip(NEXT) | instid1(VALU_DEP_2)
	v_fma_f64 v[13:14], v[9:10], s[2:3], -v[11:12]
	v_add_f64 v[4:5], v[4:5], -v[6:7]
	s_delay_alu instid0(VALU_DEP_2) | instskip(NEXT) | instid1(VALU_DEP_1)
	v_fma_f64 v[6:7], v[9:10], s[4:5], v[13:14]
	v_fma_f64 v[6:7], v[4:5], s[2:3], v[6:7]
	s_delay_alu instid0(VALU_DEP_1) | instskip(NEXT) | instid1(VALU_DEP_1)
	v_add_f64 v[4:5], v[11:12], v[6:7]
	v_add_f64 v[9:10], v[4:5], -v[11:12]
	s_delay_alu instid0(VALU_DEP_1)
	v_add_f64 v[6:7], v[6:7], -v[9:10]
.LBB3_11:
	s_and_not1_saveexec_b32 s0, s1
	s_cbranch_execz .LBB3_13
; %bb.12:
	s_mov_b32 s2, 0x6dc9c883
	s_mov_b32 s3, 0x3fe45f30
	;; [unrolled: 1-line block ×3, first 2 shown]
	s_delay_alu instid0(VALU_DEP_1) | instskip(SKIP_3) | instid1(VALU_DEP_1)
	v_mul_f64 v[4:5], v[2:3], s[2:3]
	s_mov_b32 s2, 0x54442d18
	s_mov_b32 s3, 0xbff921fb
	;; [unrolled: 1-line block ×3, first 2 shown]
	v_rndne_f64_e32 v[8:9], v[4:5]
	s_delay_alu instid0(VALU_DEP_1) | instskip(SKIP_3) | instid1(VALU_DEP_2)
	v_fma_f64 v[4:5], v[8:9], s[2:3], v[2:3]
	v_mul_f64 v[6:7], v[8:9], s[4:5]
	s_mov_b32 s2, 0x252049c0
	s_mov_b32 s3, 0xb97b839a
	v_fma_f64 v[12:13], v[8:9], s[4:5], v[4:5]
	s_delay_alu instid0(VALU_DEP_2) | instskip(SKIP_1) | instid1(VALU_DEP_1)
	v_add_f64 v[10:11], v[4:5], v[6:7]
	s_mov_b32 s5, 0x3c91a626
	v_add_f64 v[4:5], v[4:5], -v[10:11]
	s_delay_alu instid0(VALU_DEP_3) | instskip(NEXT) | instid1(VALU_DEP_2)
	v_add_f64 v[10:11], v[10:11], -v[12:13]
	v_add_f64 v[4:5], v[4:5], v[6:7]
	v_fma_f64 v[6:7], v[8:9], s[4:5], v[6:7]
	s_delay_alu instid0(VALU_DEP_2) | instskip(NEXT) | instid1(VALU_DEP_1)
	v_add_f64 v[4:5], v[10:11], v[4:5]
	v_add_f64 v[4:5], v[4:5], -v[6:7]
	s_delay_alu instid0(VALU_DEP_1) | instskip(SKIP_1) | instid1(VALU_DEP_2)
	v_fma_f64 v[6:7], v[8:9], s[2:3], v[4:5]
	v_cvt_i32_f64_e32 v8, v[8:9]
	v_add_f64 v[4:5], v[12:13], v[6:7]
	s_delay_alu instid0(VALU_DEP_1) | instskip(NEXT) | instid1(VALU_DEP_1)
	v_add_f64 v[10:11], v[4:5], -v[12:13]
	v_add_f64 v[6:7], v[6:7], -v[10:11]
.LBB3_13:
	s_or_b32 exec_lo, exec_lo, s0
	v_mul_f64 v[9:10], v[4:5], v[4:5]
	s_mov_b32 s0, 0xb42fdfa7
	s_mov_b32 s2, 0xf9a43bb8
	;; [unrolled: 1-line block ×6, first 2 shown]
	s_delay_alu instid0(VALU_DEP_2) | instskip(SKIP_2) | instid1(VALU_DEP_2)
	v_mul_f64 v[19:20], v[6:7], 0.5
	v_and_b32_e32 v2, 1, v8
	v_lshlrev_b64 v[0:1], 2, v[0:1]
	v_cmp_eq_u32_e32 vcc_lo, 0, v2
	v_fma_f64 v[11:12], v[9:10], s[2:3], s[0:1]
	s_mov_b32 s0, 0x9037ab78
	s_mov_b32 s2, 0x46cc5e42
	;; [unrolled: 1-line block ×4, first 2 shown]
	v_mul_f64 v[15:16], v[9:10], 0.5
	v_fma_f64 v[13:14], v[9:10], s[2:3], s[0:1]
	s_mov_b32 s0, 0xa17f65f6
	s_mov_b32 s2, 0x19e83e5c
	;; [unrolled: 1-line block ×4, first 2 shown]
	v_mul_f64 v[21:22], v[4:5], -v[9:10]
	s_delay_alu instid0(VALU_DEP_4) | instskip(NEXT) | instid1(VALU_DEP_4)
	v_fma_f64 v[11:12], v[9:10], v[11:12], s[4:5]
	v_add_f64 v[17:18], -v[15:16], 1.0
	s_delay_alu instid0(VALU_DEP_4) | instskip(SKIP_2) | instid1(VALU_DEP_3)
	v_fma_f64 v[13:14], v[9:10], v[13:14], s[0:1]
	s_mov_b32 s0, 0x19f4ec90
	s_mov_b32 s1, 0x3efa01a0
	v_fma_f64 v[11:12], v[9:10], v[11:12], s[2:3]
	s_mov_b32 s2, 0x11110bb3
	s_mov_b32 s3, 0x3f811111
	s_delay_alu instid0(VALU_DEP_3) | instskip(NEXT) | instid1(VALU_DEP_3)
	v_add_f64 v[23:24], -v[17:18], 1.0
	v_fma_f64 v[13:14], v[9:10], v[13:14], s[0:1]
	s_mov_b32 s0, 0x16c16967
	s_mov_b32 s1, 0xbf56c16c
	s_delay_alu instid0(VALU_DEP_3) | instskip(NEXT) | instid1(VALU_DEP_3)
	v_fma_f64 v[11:12], v[9:10], v[11:12], s[2:3]
	v_add_f64 v[15:16], v[23:24], -v[15:16]
	s_delay_alu instid0(VALU_DEP_3) | instskip(SKIP_2) | instid1(VALU_DEP_3)
	v_fma_f64 v[13:14], v[9:10], v[13:14], s[0:1]
	s_mov_b32 s1, 0x3fa55555
	s_mov_b32 s0, 0x55555555
	v_fma_f64 v[11:12], v[21:22], v[11:12], v[19:20]
	v_mul_f64 v[19:20], v[9:10], v[9:10]
	s_delay_alu instid0(VALU_DEP_4) | instskip(NEXT) | instid1(VALU_DEP_4)
	v_fma_f64 v[15:16], v[4:5], -v[6:7], v[15:16]
	v_fma_f64 v[13:14], v[9:10], v[13:14], s[0:1]
	s_mov_b32 s1, 0xbfc55555
	s_delay_alu instid0(VALU_DEP_4) | instskip(NEXT) | instid1(VALU_DEP_2)
	v_fma_f64 v[6:7], v[9:10], v[11:12], -v[6:7]
	v_fma_f64 v[9:10], v[19:20], v[13:14], v[15:16]
	s_delay_alu instid0(VALU_DEP_2) | instskip(NEXT) | instid1(VALU_DEP_2)
	v_fma_f64 v[6:7], v[21:22], s[0:1], v[6:7]
	v_add_f64 v[9:10], v[17:18], v[9:10]
	s_delay_alu instid0(VALU_DEP_2) | instskip(SKIP_1) | instid1(VALU_DEP_1)
	v_add_f64 v[4:5], v[4:5], -v[6:7]
	v_lshlrev_b32_e32 v6, 30, v8
	v_xor_b32_e32 v3, v6, v3
	s_delay_alu instid0(VALU_DEP_1) | instskip(NEXT) | instid1(VALU_DEP_4)
	v_dual_cndmask_b32 v2, v9, v4 :: v_dual_and_b32 v3, 0x80000000, v3
	v_cndmask_b32_e32 v4, v10, v5, vcc_lo
	v_add_co_u32 v0, vcc_lo, s16, v0
	v_add_co_ci_u32_e32 v1, vcc_lo, s17, v1, vcc_lo
	s_delay_alu instid0(VALU_DEP_3) | instskip(NEXT) | instid1(VALU_DEP_1)
	v_xor_b32_e32 v3, v4, v3
	v_cvt_f32_f64_e32 v2, v[2:3]
	global_store_b32 v[0:1], v2, off
.LBB3_14:
	s_nop 0
	s_sendmsg sendmsg(MSG_DEALLOC_VGPRS)
	s_endpgm
	.section	.rodata,"a",@progbits
	.p2align	6, 0x0
	.amdhsa_kernel _Z11fill_kernelIfZ21hipblaslt_init_deviceIfEv8ABC_dims24hipblaslt_initializationbPT_mmmmmEUlmE2_EvS4_mmT0_
		.amdhsa_group_segment_fixed_size 0
		.amdhsa_private_segment_fixed_size 0
		.amdhsa_kernarg_size 312
		.amdhsa_user_sgpr_count 15
		.amdhsa_user_sgpr_dispatch_ptr 0
		.amdhsa_user_sgpr_queue_ptr 0
		.amdhsa_user_sgpr_kernarg_segment_ptr 1
		.amdhsa_user_sgpr_dispatch_id 0
		.amdhsa_user_sgpr_private_segment_size 0
		.amdhsa_wavefront_size32 1
		.amdhsa_uses_dynamic_stack 0
		.amdhsa_enable_private_segment 0
		.amdhsa_system_sgpr_workgroup_id_x 1
		.amdhsa_system_sgpr_workgroup_id_y 0
		.amdhsa_system_sgpr_workgroup_id_z 0
		.amdhsa_system_sgpr_workgroup_info 0
		.amdhsa_system_vgpr_workitem_id 0
		.amdhsa_next_free_vgpr 33
		.amdhsa_next_free_sgpr 20
		.amdhsa_reserve_vcc 1
		.amdhsa_float_round_mode_32 0
		.amdhsa_float_round_mode_16_64 0
		.amdhsa_float_denorm_mode_32 3
		.amdhsa_float_denorm_mode_16_64 3
		.amdhsa_dx10_clamp 1
		.amdhsa_ieee_mode 1
		.amdhsa_fp16_overflow 0
		.amdhsa_workgroup_processor_mode 1
		.amdhsa_memory_ordered 1
		.amdhsa_forward_progress 0
		.amdhsa_shared_vgpr_count 0
		.amdhsa_exception_fp_ieee_invalid_op 0
		.amdhsa_exception_fp_denorm_src 0
		.amdhsa_exception_fp_ieee_div_zero 0
		.amdhsa_exception_fp_ieee_overflow 0
		.amdhsa_exception_fp_ieee_underflow 0
		.amdhsa_exception_fp_ieee_inexact 0
		.amdhsa_exception_int_div_zero 0
	.end_amdhsa_kernel
	.section	.text._Z11fill_kernelIfZ21hipblaslt_init_deviceIfEv8ABC_dims24hipblaslt_initializationbPT_mmmmmEUlmE2_EvS4_mmT0_,"axG",@progbits,_Z11fill_kernelIfZ21hipblaslt_init_deviceIfEv8ABC_dims24hipblaslt_initializationbPT_mmmmmEUlmE2_EvS4_mmT0_,comdat
.Lfunc_end3:
	.size	_Z11fill_kernelIfZ21hipblaslt_init_deviceIfEv8ABC_dims24hipblaslt_initializationbPT_mmmmmEUlmE2_EvS4_mmT0_, .Lfunc_end3-_Z11fill_kernelIfZ21hipblaslt_init_deviceIfEv8ABC_dims24hipblaslt_initializationbPT_mmmmmEUlmE2_EvS4_mmT0_
                                        ; -- End function
	.section	.AMDGPU.csdata,"",@progbits
; Kernel info:
; codeLenInByte = 3568
; NumSgprs: 22
; NumVgprs: 33
; ScratchSize: 0
; MemoryBound: 0
; FloatMode: 240
; IeeeMode: 1
; LDSByteSize: 0 bytes/workgroup (compile time only)
; SGPRBlocks: 2
; VGPRBlocks: 4
; NumSGPRsForWavesPerEU: 22
; NumVGPRsForWavesPerEU: 33
; Occupancy: 16
; WaveLimiterHint : 0
; COMPUTE_PGM_RSRC2:SCRATCH_EN: 0
; COMPUTE_PGM_RSRC2:USER_SGPR: 15
; COMPUTE_PGM_RSRC2:TRAP_HANDLER: 0
; COMPUTE_PGM_RSRC2:TGID_X_EN: 1
; COMPUTE_PGM_RSRC2:TGID_Y_EN: 0
; COMPUTE_PGM_RSRC2:TGID_Z_EN: 0
; COMPUTE_PGM_RSRC2:TIDIG_COMP_CNT: 0
	.section	.text._Z11fill_kernelIfZ21hipblaslt_init_deviceIfEv8ABC_dims24hipblaslt_initializationbPT_mmmmmEUlmE3_EvS4_mmT0_,"axG",@progbits,_Z11fill_kernelIfZ21hipblaslt_init_deviceIfEv8ABC_dims24hipblaslt_initializationbPT_mmmmmEUlmE3_EvS4_mmT0_,comdat
	.protected	_Z11fill_kernelIfZ21hipblaslt_init_deviceIfEv8ABC_dims24hipblaslt_initializationbPT_mmmmmEUlmE3_EvS4_mmT0_ ; -- Begin function _Z11fill_kernelIfZ21hipblaslt_init_deviceIfEv8ABC_dims24hipblaslt_initializationbPT_mmmmmEUlmE3_EvS4_mmT0_
	.globl	_Z11fill_kernelIfZ21hipblaslt_init_deviceIfEv8ABC_dims24hipblaslt_initializationbPT_mmmmmEUlmE3_EvS4_mmT0_
	.p2align	8
	.type	_Z11fill_kernelIfZ21hipblaslt_init_deviceIfEv8ABC_dims24hipblaslt_initializationbPT_mmmmmEUlmE3_EvS4_mmT0_,@function
_Z11fill_kernelIfZ21hipblaslt_init_deviceIfEv8ABC_dims24hipblaslt_initializationbPT_mmmmmEUlmE3_EvS4_mmT0_: ; @_Z11fill_kernelIfZ21hipblaslt_init_deviceIfEv8ABC_dims24hipblaslt_initializationbPT_mmmmmEUlmE3_EvS4_mmT0_
; %bb.0:
	s_clause 0x1
	s_load_b32 s2, s[0:1], 0x44
	s_load_b128 s[16:19], s[0:1], 0x0
	s_waitcnt lgkmcnt(0)
	s_and_b32 s2, s2, 0xffff
	s_delay_alu instid0(SALU_CYCLE_1) | instskip(SKIP_2) | instid1(VALU_DEP_1)
	v_mad_u64_u32 v[1:2], null, s15, s2, v[0:1]
	v_mov_b32_e32 v2, 0
	s_mov_b32 s2, exec_lo
	v_cmpx_gt_u64_e64 s[18:19], v[1:2]
	s_cbranch_execz .LBB4_14
; %bb.1:
	s_clause 0x1
	s_load_b64 s[2:3], s[0:1], 0x10
	s_load_b256 s[4:11], s[0:1], 0x18
	s_waitcnt lgkmcnt(0)
	v_add_co_u32 v0, s0, v1, s2
	s_delay_alu instid0(VALU_DEP_1) | instskip(NEXT) | instid1(VALU_DEP_1)
	v_add_co_ci_u32_e64 v1, null, 0, s3, s0
	v_or_b32_e32 v3, s9, v1
	s_delay_alu instid0(VALU_DEP_1) | instskip(SKIP_1) | instid1(SALU_CYCLE_1)
	v_cmp_ne_u64_e32 vcc_lo, 0, v[2:3]
                                        ; implicit-def: $vgpr2_vgpr3
	s_and_saveexec_b32 s0, vcc_lo
	s_xor_b32 s1, exec_lo, s0
	s_cbranch_execz .LBB4_3
; %bb.2:
	v_cvt_f32_u32_e32 v2, s8
	v_cvt_f32_u32_e32 v3, s9
	s_sub_u32 s0, 0, s8
	s_subb_u32 s2, 0, s9
	s_delay_alu instid0(VALU_DEP_1) | instskip(NEXT) | instid1(VALU_DEP_1)
	v_fmamk_f32 v2, v3, 0x4f800000, v2
	v_rcp_f32_e32 v2, v2
	s_waitcnt_depctr 0xfff
	v_mul_f32_e32 v2, 0x5f7ffffc, v2
	s_delay_alu instid0(VALU_DEP_1) | instskip(NEXT) | instid1(VALU_DEP_1)
	v_mul_f32_e32 v3, 0x2f800000, v2
	v_trunc_f32_e32 v3, v3
	s_delay_alu instid0(VALU_DEP_1) | instskip(SKIP_1) | instid1(VALU_DEP_2)
	v_fmamk_f32 v2, v3, 0xcf800000, v2
	v_cvt_u32_f32_e32 v3, v3
	v_cvt_u32_f32_e32 v2, v2
	s_delay_alu instid0(VALU_DEP_2) | instskip(NEXT) | instid1(VALU_DEP_2)
	v_mul_lo_u32 v4, s0, v3
	v_mul_hi_u32 v5, s0, v2
	v_mul_lo_u32 v6, s2, v2
	s_delay_alu instid0(VALU_DEP_2) | instskip(SKIP_1) | instid1(VALU_DEP_2)
	v_add_nc_u32_e32 v4, v5, v4
	v_mul_lo_u32 v5, s0, v2
	v_add_nc_u32_e32 v4, v4, v6
	s_delay_alu instid0(VALU_DEP_2) | instskip(NEXT) | instid1(VALU_DEP_2)
	v_mul_hi_u32 v6, v2, v5
	v_mul_lo_u32 v7, v2, v4
	v_mul_hi_u32 v8, v2, v4
	v_mul_hi_u32 v9, v3, v5
	v_mul_lo_u32 v5, v3, v5
	v_mul_hi_u32 v10, v3, v4
	v_mul_lo_u32 v4, v3, v4
	v_add_co_u32 v6, vcc_lo, v6, v7
	v_add_co_ci_u32_e32 v7, vcc_lo, 0, v8, vcc_lo
	s_delay_alu instid0(VALU_DEP_2) | instskip(NEXT) | instid1(VALU_DEP_2)
	v_add_co_u32 v5, vcc_lo, v6, v5
	v_add_co_ci_u32_e32 v5, vcc_lo, v7, v9, vcc_lo
	v_add_co_ci_u32_e32 v6, vcc_lo, 0, v10, vcc_lo
	s_delay_alu instid0(VALU_DEP_2) | instskip(NEXT) | instid1(VALU_DEP_2)
	v_add_co_u32 v4, vcc_lo, v5, v4
	v_add_co_ci_u32_e32 v5, vcc_lo, 0, v6, vcc_lo
	s_delay_alu instid0(VALU_DEP_2) | instskip(NEXT) | instid1(VALU_DEP_2)
	v_add_co_u32 v2, vcc_lo, v2, v4
	v_add_co_ci_u32_e32 v3, vcc_lo, v3, v5, vcc_lo
	s_delay_alu instid0(VALU_DEP_2) | instskip(SKIP_1) | instid1(VALU_DEP_3)
	v_mul_hi_u32 v4, s0, v2
	v_mul_lo_u32 v6, s2, v2
	v_mul_lo_u32 v5, s0, v3
	s_delay_alu instid0(VALU_DEP_1) | instskip(SKIP_1) | instid1(VALU_DEP_2)
	v_add_nc_u32_e32 v4, v4, v5
	v_mul_lo_u32 v5, s0, v2
	v_add_nc_u32_e32 v4, v4, v6
	s_delay_alu instid0(VALU_DEP_2) | instskip(NEXT) | instid1(VALU_DEP_2)
	v_mul_hi_u32 v6, v2, v5
	v_mul_lo_u32 v7, v2, v4
	v_mul_hi_u32 v8, v2, v4
	v_mul_hi_u32 v9, v3, v5
	v_mul_lo_u32 v5, v3, v5
	v_mul_hi_u32 v10, v3, v4
	v_mul_lo_u32 v4, v3, v4
	v_add_co_u32 v6, vcc_lo, v6, v7
	v_add_co_ci_u32_e32 v7, vcc_lo, 0, v8, vcc_lo
	s_delay_alu instid0(VALU_DEP_2) | instskip(NEXT) | instid1(VALU_DEP_2)
	v_add_co_u32 v5, vcc_lo, v6, v5
	v_add_co_ci_u32_e32 v5, vcc_lo, v7, v9, vcc_lo
	v_add_co_ci_u32_e32 v6, vcc_lo, 0, v10, vcc_lo
	s_delay_alu instid0(VALU_DEP_2) | instskip(NEXT) | instid1(VALU_DEP_2)
	v_add_co_u32 v4, vcc_lo, v5, v4
	v_add_co_ci_u32_e32 v5, vcc_lo, 0, v6, vcc_lo
	s_delay_alu instid0(VALU_DEP_2) | instskip(NEXT) | instid1(VALU_DEP_2)
	v_add_co_u32 v6, vcc_lo, v2, v4
	v_add_co_ci_u32_e32 v8, vcc_lo, v3, v5, vcc_lo
	s_delay_alu instid0(VALU_DEP_2) | instskip(SKIP_1) | instid1(VALU_DEP_3)
	v_mul_hi_u32 v9, v0, v6
	v_mad_u64_u32 v[4:5], null, v1, v6, 0
	v_mad_u64_u32 v[2:3], null, v0, v8, 0
	;; [unrolled: 1-line block ×3, first 2 shown]
	s_delay_alu instid0(VALU_DEP_2) | instskip(NEXT) | instid1(VALU_DEP_3)
	v_add_co_u32 v2, vcc_lo, v9, v2
	v_add_co_ci_u32_e32 v3, vcc_lo, 0, v3, vcc_lo
	s_delay_alu instid0(VALU_DEP_2) | instskip(NEXT) | instid1(VALU_DEP_2)
	v_add_co_u32 v2, vcc_lo, v2, v4
	v_add_co_ci_u32_e32 v2, vcc_lo, v3, v5, vcc_lo
	v_add_co_ci_u32_e32 v3, vcc_lo, 0, v7, vcc_lo
	s_delay_alu instid0(VALU_DEP_2) | instskip(NEXT) | instid1(VALU_DEP_2)
	v_add_co_u32 v4, vcc_lo, v2, v6
	v_add_co_ci_u32_e32 v5, vcc_lo, 0, v3, vcc_lo
	s_delay_alu instid0(VALU_DEP_2) | instskip(SKIP_1) | instid1(VALU_DEP_3)
	v_mul_lo_u32 v6, s9, v4
	v_mad_u64_u32 v[2:3], null, s8, v4, 0
	v_mul_lo_u32 v7, s8, v5
	s_delay_alu instid0(VALU_DEP_2) | instskip(NEXT) | instid1(VALU_DEP_2)
	v_sub_co_u32 v2, vcc_lo, v0, v2
	v_add3_u32 v3, v3, v7, v6
	s_delay_alu instid0(VALU_DEP_1) | instskip(NEXT) | instid1(VALU_DEP_1)
	v_sub_nc_u32_e32 v6, v1, v3
	v_subrev_co_ci_u32_e64 v6, s0, s9, v6, vcc_lo
	v_add_co_u32 v7, s0, v4, 2
	s_delay_alu instid0(VALU_DEP_1) | instskip(SKIP_3) | instid1(VALU_DEP_3)
	v_add_co_ci_u32_e64 v8, s0, 0, v5, s0
	v_sub_co_u32 v9, s0, v2, s8
	v_sub_co_ci_u32_e32 v3, vcc_lo, v1, v3, vcc_lo
	v_subrev_co_ci_u32_e64 v6, s0, 0, v6, s0
	v_cmp_le_u32_e32 vcc_lo, s8, v9
	s_delay_alu instid0(VALU_DEP_3) | instskip(SKIP_1) | instid1(VALU_DEP_4)
	v_cmp_eq_u32_e64 s0, s9, v3
	v_cndmask_b32_e64 v9, 0, -1, vcc_lo
	v_cmp_le_u32_e32 vcc_lo, s9, v6
	v_cndmask_b32_e64 v10, 0, -1, vcc_lo
	v_cmp_le_u32_e32 vcc_lo, s8, v2
	;; [unrolled: 2-line block ×3, first 2 shown]
	v_cndmask_b32_e64 v11, 0, -1, vcc_lo
	v_cmp_eq_u32_e32 vcc_lo, s9, v6
	s_delay_alu instid0(VALU_DEP_2) | instskip(SKIP_3) | instid1(VALU_DEP_3)
	v_cndmask_b32_e64 v2, v11, v2, s0
	v_cndmask_b32_e32 v6, v10, v9, vcc_lo
	v_add_co_u32 v9, vcc_lo, v4, 1
	v_add_co_ci_u32_e32 v10, vcc_lo, 0, v5, vcc_lo
	v_cmp_ne_u32_e32 vcc_lo, 0, v6
	s_delay_alu instid0(VALU_DEP_2) | instskip(SKIP_1) | instid1(VALU_DEP_2)
	v_dual_cndmask_b32 v3, v10, v8 :: v_dual_cndmask_b32 v6, v9, v7
	v_cmp_ne_u32_e32 vcc_lo, 0, v2
	v_dual_cndmask_b32 v3, v5, v3 :: v_dual_cndmask_b32 v2, v4, v6
.LBB4_3:
	s_and_not1_saveexec_b32 s0, s1
	s_cbranch_execz .LBB4_5
; %bb.4:
	v_cvt_f32_u32_e32 v2, s8
	s_sub_i32 s1, 0, s8
	s_delay_alu instid0(VALU_DEP_1) | instskip(SKIP_2) | instid1(VALU_DEP_1)
	v_rcp_iflag_f32_e32 v2, v2
	s_waitcnt_depctr 0xfff
	v_mul_f32_e32 v2, 0x4f7ffffe, v2
	v_cvt_u32_f32_e32 v2, v2
	s_delay_alu instid0(VALU_DEP_1) | instskip(NEXT) | instid1(VALU_DEP_1)
	v_mul_lo_u32 v3, s1, v2
	v_mul_hi_u32 v3, v2, v3
	s_delay_alu instid0(VALU_DEP_1) | instskip(NEXT) | instid1(VALU_DEP_1)
	v_add_nc_u32_e32 v2, v2, v3
	v_mul_hi_u32 v2, v0, v2
	s_delay_alu instid0(VALU_DEP_1) | instskip(SKIP_1) | instid1(VALU_DEP_2)
	v_mul_lo_u32 v3, v2, s8
	v_add_nc_u32_e32 v4, 1, v2
	v_sub_nc_u32_e32 v3, v0, v3
	s_delay_alu instid0(VALU_DEP_1) | instskip(SKIP_1) | instid1(VALU_DEP_2)
	v_subrev_nc_u32_e32 v5, s8, v3
	v_cmp_le_u32_e32 vcc_lo, s8, v3
	v_dual_cndmask_b32 v3, v3, v5 :: v_dual_cndmask_b32 v2, v2, v4
	s_delay_alu instid0(VALU_DEP_1) | instskip(NEXT) | instid1(VALU_DEP_2)
	v_cmp_le_u32_e32 vcc_lo, s8, v3
	v_dual_mov_b32 v3, 0 :: v_dual_add_nc_u32 v4, 1, v2
	s_delay_alu instid0(VALU_DEP_1)
	v_cndmask_b32_e32 v2, v2, v4, vcc_lo
.LBB4_5:
	s_or_b32 exec_lo, exec_lo, s0
	s_delay_alu instid0(VALU_DEP_1) | instskip(NEXT) | instid1(VALU_DEP_2)
	v_mul_lo_u32 v6, v3, s8
	v_mul_lo_u32 v7, v2, s9
	v_mad_u64_u32 v[4:5], null, v2, s8, 0
	s_delay_alu instid0(VALU_DEP_1) | instskip(NEXT) | instid1(VALU_DEP_2)
	v_add3_u32 v5, v5, v7, v6
	v_sub_co_u32 v6, vcc_lo, v0, v4
	v_mov_b32_e32 v4, 0
	s_delay_alu instid0(VALU_DEP_3) | instskip(NEXT) | instid1(VALU_DEP_1)
	v_sub_co_ci_u32_e32 v7, vcc_lo, v1, v5, vcc_lo
	v_or_b32_e32 v5, s11, v7
	s_delay_alu instid0(VALU_DEP_1) | instskip(SKIP_1) | instid1(SALU_CYCLE_1)
	v_cmp_ne_u64_e32 vcc_lo, 0, v[4:5]
                                        ; implicit-def: $vgpr4_vgpr5
	s_and_saveexec_b32 s0, vcc_lo
	s_xor_b32 s1, exec_lo, s0
	s_cbranch_execz .LBB4_7
; %bb.6:
	v_cvt_f32_u32_e32 v4, s10
	v_cvt_f32_u32_e32 v5, s11
	s_sub_u32 s0, 0, s10
	s_subb_u32 s2, 0, s11
	s_delay_alu instid0(VALU_DEP_1) | instskip(NEXT) | instid1(VALU_DEP_1)
	v_fmamk_f32 v4, v5, 0x4f800000, v4
	v_rcp_f32_e32 v4, v4
	s_waitcnt_depctr 0xfff
	v_mul_f32_e32 v4, 0x5f7ffffc, v4
	s_delay_alu instid0(VALU_DEP_1) | instskip(NEXT) | instid1(VALU_DEP_1)
	v_mul_f32_e32 v5, 0x2f800000, v4
	v_trunc_f32_e32 v5, v5
	s_delay_alu instid0(VALU_DEP_1) | instskip(SKIP_1) | instid1(VALU_DEP_2)
	v_fmamk_f32 v4, v5, 0xcf800000, v4
	v_cvt_u32_f32_e32 v5, v5
	v_cvt_u32_f32_e32 v4, v4
	s_delay_alu instid0(VALU_DEP_2) | instskip(NEXT) | instid1(VALU_DEP_2)
	v_mul_lo_u32 v8, s0, v5
	v_mul_hi_u32 v9, s0, v4
	v_mul_lo_u32 v10, s2, v4
	s_delay_alu instid0(VALU_DEP_2) | instskip(SKIP_1) | instid1(VALU_DEP_2)
	v_add_nc_u32_e32 v8, v9, v8
	v_mul_lo_u32 v9, s0, v4
	v_add_nc_u32_e32 v8, v8, v10
	s_delay_alu instid0(VALU_DEP_2) | instskip(NEXT) | instid1(VALU_DEP_2)
	v_mul_hi_u32 v10, v4, v9
	v_mul_lo_u32 v11, v4, v8
	v_mul_hi_u32 v12, v4, v8
	v_mul_hi_u32 v13, v5, v9
	v_mul_lo_u32 v9, v5, v9
	v_mul_hi_u32 v14, v5, v8
	v_mul_lo_u32 v8, v5, v8
	v_add_co_u32 v10, vcc_lo, v10, v11
	v_add_co_ci_u32_e32 v11, vcc_lo, 0, v12, vcc_lo
	s_delay_alu instid0(VALU_DEP_2) | instskip(NEXT) | instid1(VALU_DEP_2)
	v_add_co_u32 v9, vcc_lo, v10, v9
	v_add_co_ci_u32_e32 v9, vcc_lo, v11, v13, vcc_lo
	v_add_co_ci_u32_e32 v10, vcc_lo, 0, v14, vcc_lo
	s_delay_alu instid0(VALU_DEP_2) | instskip(NEXT) | instid1(VALU_DEP_2)
	v_add_co_u32 v8, vcc_lo, v9, v8
	v_add_co_ci_u32_e32 v9, vcc_lo, 0, v10, vcc_lo
	s_delay_alu instid0(VALU_DEP_2) | instskip(NEXT) | instid1(VALU_DEP_2)
	v_add_co_u32 v4, vcc_lo, v4, v8
	v_add_co_ci_u32_e32 v5, vcc_lo, v5, v9, vcc_lo
	s_delay_alu instid0(VALU_DEP_2) | instskip(SKIP_1) | instid1(VALU_DEP_3)
	v_mul_hi_u32 v8, s0, v4
	v_mul_lo_u32 v10, s2, v4
	v_mul_lo_u32 v9, s0, v5
	s_delay_alu instid0(VALU_DEP_1) | instskip(SKIP_1) | instid1(VALU_DEP_2)
	v_add_nc_u32_e32 v8, v8, v9
	v_mul_lo_u32 v9, s0, v4
	v_add_nc_u32_e32 v8, v8, v10
	s_delay_alu instid0(VALU_DEP_2) | instskip(NEXT) | instid1(VALU_DEP_2)
	v_mul_hi_u32 v10, v4, v9
	v_mul_lo_u32 v11, v4, v8
	v_mul_hi_u32 v12, v4, v8
	v_mul_hi_u32 v13, v5, v9
	v_mul_lo_u32 v9, v5, v9
	v_mul_hi_u32 v14, v5, v8
	v_mul_lo_u32 v8, v5, v8
	v_add_co_u32 v10, vcc_lo, v10, v11
	v_add_co_ci_u32_e32 v11, vcc_lo, 0, v12, vcc_lo
	s_delay_alu instid0(VALU_DEP_2) | instskip(NEXT) | instid1(VALU_DEP_2)
	v_add_co_u32 v9, vcc_lo, v10, v9
	v_add_co_ci_u32_e32 v9, vcc_lo, v11, v13, vcc_lo
	v_add_co_ci_u32_e32 v10, vcc_lo, 0, v14, vcc_lo
	s_delay_alu instid0(VALU_DEP_2) | instskip(NEXT) | instid1(VALU_DEP_2)
	v_add_co_u32 v8, vcc_lo, v9, v8
	v_add_co_ci_u32_e32 v9, vcc_lo, 0, v10, vcc_lo
	s_delay_alu instid0(VALU_DEP_2) | instskip(NEXT) | instid1(VALU_DEP_2)
	v_add_co_u32 v10, vcc_lo, v4, v8
	v_add_co_ci_u32_e32 v12, vcc_lo, v5, v9, vcc_lo
	s_delay_alu instid0(VALU_DEP_2) | instskip(SKIP_1) | instid1(VALU_DEP_3)
	v_mul_hi_u32 v13, v6, v10
	v_mad_u64_u32 v[8:9], null, v7, v10, 0
	v_mad_u64_u32 v[4:5], null, v6, v12, 0
	;; [unrolled: 1-line block ×3, first 2 shown]
	s_delay_alu instid0(VALU_DEP_2) | instskip(NEXT) | instid1(VALU_DEP_3)
	v_add_co_u32 v4, vcc_lo, v13, v4
	v_add_co_ci_u32_e32 v5, vcc_lo, 0, v5, vcc_lo
	s_delay_alu instid0(VALU_DEP_2) | instskip(NEXT) | instid1(VALU_DEP_2)
	v_add_co_u32 v4, vcc_lo, v4, v8
	v_add_co_ci_u32_e32 v4, vcc_lo, v5, v9, vcc_lo
	v_add_co_ci_u32_e32 v5, vcc_lo, 0, v11, vcc_lo
	s_delay_alu instid0(VALU_DEP_2) | instskip(NEXT) | instid1(VALU_DEP_2)
	v_add_co_u32 v8, vcc_lo, v4, v10
	v_add_co_ci_u32_e32 v9, vcc_lo, 0, v5, vcc_lo
	s_delay_alu instid0(VALU_DEP_2) | instskip(SKIP_1) | instid1(VALU_DEP_3)
	v_mul_lo_u32 v10, s11, v8
	v_mad_u64_u32 v[4:5], null, s10, v8, 0
	v_mul_lo_u32 v11, s10, v9
	s_delay_alu instid0(VALU_DEP_2) | instskip(NEXT) | instid1(VALU_DEP_2)
	v_sub_co_u32 v4, vcc_lo, v6, v4
	v_add3_u32 v5, v5, v11, v10
	s_delay_alu instid0(VALU_DEP_1) | instskip(NEXT) | instid1(VALU_DEP_1)
	v_sub_nc_u32_e32 v10, v7, v5
	v_subrev_co_ci_u32_e64 v10, s0, s11, v10, vcc_lo
	v_add_co_u32 v11, s0, v8, 2
	s_delay_alu instid0(VALU_DEP_1) | instskip(SKIP_3) | instid1(VALU_DEP_3)
	v_add_co_ci_u32_e64 v12, s0, 0, v9, s0
	v_sub_co_u32 v13, s0, v4, s10
	v_sub_co_ci_u32_e32 v5, vcc_lo, v7, v5, vcc_lo
	v_subrev_co_ci_u32_e64 v10, s0, 0, v10, s0
	v_cmp_le_u32_e32 vcc_lo, s10, v13
	s_delay_alu instid0(VALU_DEP_3) | instskip(SKIP_1) | instid1(VALU_DEP_4)
	v_cmp_eq_u32_e64 s0, s11, v5
	v_cndmask_b32_e64 v13, 0, -1, vcc_lo
	v_cmp_le_u32_e32 vcc_lo, s11, v10
	v_cndmask_b32_e64 v14, 0, -1, vcc_lo
	v_cmp_le_u32_e32 vcc_lo, s10, v4
	;; [unrolled: 2-line block ×3, first 2 shown]
	v_cndmask_b32_e64 v15, 0, -1, vcc_lo
	v_cmp_eq_u32_e32 vcc_lo, s11, v10
	s_delay_alu instid0(VALU_DEP_2) | instskip(SKIP_3) | instid1(VALU_DEP_3)
	v_cndmask_b32_e64 v4, v15, v4, s0
	v_cndmask_b32_e32 v10, v14, v13, vcc_lo
	v_add_co_u32 v13, vcc_lo, v8, 1
	v_add_co_ci_u32_e32 v14, vcc_lo, 0, v9, vcc_lo
	v_cmp_ne_u32_e32 vcc_lo, 0, v10
	s_delay_alu instid0(VALU_DEP_2) | instskip(SKIP_1) | instid1(VALU_DEP_2)
	v_dual_cndmask_b32 v5, v14, v12 :: v_dual_cndmask_b32 v10, v13, v11
	v_cmp_ne_u32_e32 vcc_lo, 0, v4
	v_dual_cndmask_b32 v5, v9, v5 :: v_dual_cndmask_b32 v4, v8, v10
.LBB4_7:
	s_and_not1_saveexec_b32 s0, s1
	s_cbranch_execz .LBB4_9
; %bb.8:
	v_cvt_f32_u32_e32 v4, s10
	s_sub_i32 s1, 0, s10
	s_delay_alu instid0(VALU_DEP_1) | instskip(SKIP_2) | instid1(VALU_DEP_1)
	v_rcp_iflag_f32_e32 v4, v4
	s_waitcnt_depctr 0xfff
	v_mul_f32_e32 v4, 0x4f7ffffe, v4
	v_cvt_u32_f32_e32 v4, v4
	s_delay_alu instid0(VALU_DEP_1) | instskip(NEXT) | instid1(VALU_DEP_1)
	v_mul_lo_u32 v5, s1, v4
	v_mul_hi_u32 v5, v4, v5
	s_delay_alu instid0(VALU_DEP_1) | instskip(NEXT) | instid1(VALU_DEP_1)
	v_add_nc_u32_e32 v4, v4, v5
	v_mul_hi_u32 v4, v6, v4
	s_delay_alu instid0(VALU_DEP_1) | instskip(SKIP_1) | instid1(VALU_DEP_2)
	v_mul_lo_u32 v5, v4, s10
	v_add_nc_u32_e32 v8, 1, v4
	v_sub_nc_u32_e32 v5, v6, v5
	s_delay_alu instid0(VALU_DEP_1) | instskip(SKIP_1) | instid1(VALU_DEP_2)
	v_subrev_nc_u32_e32 v9, s10, v5
	v_cmp_le_u32_e32 vcc_lo, s10, v5
	v_dual_cndmask_b32 v5, v5, v9 :: v_dual_cndmask_b32 v4, v4, v8
	s_delay_alu instid0(VALU_DEP_1) | instskip(NEXT) | instid1(VALU_DEP_2)
	v_cmp_le_u32_e32 vcc_lo, s10, v5
	v_dual_mov_b32 v5, 0 :: v_dual_add_nc_u32 v8, 1, v4
	s_delay_alu instid0(VALU_DEP_1)
	v_cndmask_b32_e32 v4, v4, v8, vcc_lo
.LBB4_9:
	s_or_b32 exec_lo, exec_lo, s0
	s_delay_alu instid0(VALU_DEP_1) | instskip(NEXT) | instid1(VALU_DEP_2)
	v_mul_lo_u32 v12, v5, s10
	v_mul_lo_u32 v13, v4, s11
	v_mad_u64_u32 v[8:9], null, v4, s10, 0
	v_mad_u64_u32 v[10:11], null, v2, s6, v[4:5]
	v_mul_lo_u32 v2, v2, s7
	v_mul_lo_u32 v3, v3, s6
	s_delay_alu instid0(VALU_DEP_4) | instskip(NEXT) | instid1(VALU_DEP_2)
	v_add3_u32 v4, v9, v13, v12
	v_add3_u32 v5, v3, v11, v2
	v_sub_co_u32 v2, vcc_lo, v6, v8
	s_delay_alu instid0(VALU_DEP_3) | instskip(SKIP_1) | instid1(VALU_DEP_4)
	v_sub_co_ci_u32_e32 v3, vcc_lo, v7, v4, vcc_lo
	v_mul_lo_u32 v6, v10, s5
	v_mul_lo_u32 v7, v5, s4
                                        ; implicit-def: $vgpr8
	s_delay_alu instid0(VALU_DEP_3) | instskip(NEXT) | instid1(VALU_DEP_1)
	v_mad_u64_u32 v[4:5], null, v10, s4, v[2:3]
	v_add3_u32 v5, v7, v5, v6
	s_delay_alu instid0(VALU_DEP_2) | instskip(NEXT) | instid1(VALU_DEP_2)
	v_cvt_f64_u32_e32 v[6:7], v4
	v_cvt_f64_u32_e32 v[2:3], v5
	v_cmp_lt_u64_e32 vcc_lo, 0x3fffffff, v[4:5]
                                        ; implicit-def: $vgpr4_vgpr5
	s_delay_alu instid0(VALU_DEP_2) | instskip(NEXT) | instid1(VALU_DEP_1)
	v_ldexp_f64 v[2:3], v[2:3], 32
	v_add_f64 v[6:7], v[2:3], v[6:7]
                                        ; implicit-def: $vgpr2_vgpr3
	s_and_saveexec_b32 s0, vcc_lo
	s_delay_alu instid0(SALU_CYCLE_1)
	s_xor_b32 s1, exec_lo, s0
	s_cbranch_execz .LBB4_11
; %bb.10:
	s_delay_alu instid0(VALU_DEP_1)
	v_trig_preop_f64 v[2:3], v[6:7], 0
	v_trig_preop_f64 v[4:5], v[6:7], 1
	;; [unrolled: 1-line block ×3, first 2 shown]
	v_mov_b32_e32 v24, 0
	s_mov_b32 s2, 0x54442d18
	s_mov_b32 s3, 0x3ff921fb
	;; [unrolled: 1-line block ×4, first 2 shown]
	s_delay_alu instid0(VALU_DEP_4) | instskip(NEXT) | instid1(VALU_DEP_4)
	v_mul_f64 v[8:9], v[2:3], v[6:7]
	v_mul_f64 v[10:11], v[4:5], v[6:7]
	s_delay_alu instid0(VALU_DEP_4) | instskip(NEXT) | instid1(VALU_DEP_3)
	v_mul_f64 v[22:23], v[16:17], v[6:7]
	v_fma_f64 v[2:3], v[2:3], v[6:7], -v[8:9]
	s_delay_alu instid0(VALU_DEP_3) | instskip(NEXT) | instid1(VALU_DEP_3)
	v_fma_f64 v[4:5], v[4:5], v[6:7], -v[10:11]
	v_fma_f64 v[6:7], v[16:17], v[6:7], -v[22:23]
	s_delay_alu instid0(VALU_DEP_3) | instskip(NEXT) | instid1(VALU_DEP_1)
	v_add_f64 v[12:13], v[10:11], v[2:3]
	v_add_f64 v[14:15], v[12:13], -v[10:11]
	v_add_f64 v[20:21], v[8:9], v[12:13]
	s_delay_alu instid0(VALU_DEP_2) | instskip(SKIP_1) | instid1(VALU_DEP_3)
	v_add_f64 v[18:19], v[12:13], -v[14:15]
	v_add_f64 v[2:3], v[2:3], -v[14:15]
	v_ldexp_f64 v[14:15], v[20:21], -2
	v_add_f64 v[8:9], v[20:21], -v[8:9]
	s_delay_alu instid0(VALU_DEP_4) | instskip(SKIP_1) | instid1(VALU_DEP_4)
	v_add_f64 v[10:11], v[10:11], -v[18:19]
	v_add_f64 v[18:19], v[22:23], v[4:5]
	v_cmp_neq_f64_e64 vcc_lo, 0x7ff00000, |v[14:15]|
	s_delay_alu instid0(VALU_DEP_4) | instskip(NEXT) | instid1(VALU_DEP_4)
	v_add_f64 v[8:9], v[12:13], -v[8:9]
	v_add_f64 v[2:3], v[2:3], v[10:11]
	v_fract_f64_e32 v[10:11], v[14:15]
	s_delay_alu instid0(VALU_DEP_2) | instskip(NEXT) | instid1(VALU_DEP_2)
	v_add_f64 v[12:13], v[18:19], v[2:3]
	v_dual_cndmask_b32 v11, 0, v11 :: v_dual_cndmask_b32 v10, 0, v10
	s_delay_alu instid0(VALU_DEP_1) | instskip(NEXT) | instid1(VALU_DEP_3)
	v_ldexp_f64 v[10:11], v[10:11], 2
	v_add_f64 v[14:15], v[8:9], v[12:13]
	s_delay_alu instid0(VALU_DEP_1) | instskip(SKIP_1) | instid1(VALU_DEP_2)
	v_add_f64 v[20:21], v[14:15], v[10:11]
	v_add_f64 v[8:9], v[14:15], -v[8:9]
	v_cmp_gt_f64_e32 vcc_lo, 0, v[20:21]
	v_add_f64 v[20:21], v[18:19], -v[22:23]
	s_delay_alu instid0(VALU_DEP_3) | instskip(SKIP_1) | instid1(VALU_DEP_3)
	v_add_f64 v[8:9], v[12:13], -v[8:9]
	v_cndmask_b32_e64 v25, 0, 0x40100000, vcc_lo
	v_add_f64 v[29:30], v[18:19], -v[20:21]
	v_add_f64 v[4:5], v[4:5], -v[20:21]
	s_delay_alu instid0(VALU_DEP_3) | instskip(SKIP_1) | instid1(VALU_DEP_4)
	v_add_f64 v[10:11], v[10:11], v[24:25]
	v_add_f64 v[25:26], v[12:13], -v[18:19]
	v_add_f64 v[20:21], v[22:23], -v[29:30]
	s_delay_alu instid0(VALU_DEP_3) | instskip(NEXT) | instid1(VALU_DEP_3)
	v_add_f64 v[27:28], v[14:15], v[10:11]
	v_add_f64 v[31:32], v[12:13], -v[25:26]
	v_add_f64 v[2:3], v[2:3], -v[25:26]
	s_delay_alu instid0(VALU_DEP_4) | instskip(NEXT) | instid1(VALU_DEP_4)
	v_add_f64 v[4:5], v[4:5], v[20:21]
	v_cvt_i32_f64_e32 v27, v[27:28]
	s_delay_alu instid0(VALU_DEP_4) | instskip(NEXT) | instid1(VALU_DEP_2)
	v_add_f64 v[18:19], v[18:19], -v[31:32]
	v_cvt_f64_i32_e32 v[25:26], v27
	s_delay_alu instid0(VALU_DEP_2) | instskip(NEXT) | instid1(VALU_DEP_2)
	v_add_f64 v[2:3], v[2:3], v[18:19]
	v_add_f64 v[10:11], v[10:11], -v[25:26]
	s_delay_alu instid0(VALU_DEP_2) | instskip(NEXT) | instid1(VALU_DEP_2)
	v_add_f64 v[2:3], v[4:5], v[2:3]
	v_add_f64 v[4:5], v[14:15], v[10:11]
	s_delay_alu instid0(VALU_DEP_2) | instskip(NEXT) | instid1(VALU_DEP_2)
	v_add_f64 v[2:3], v[6:7], v[2:3]
	v_add_f64 v[6:7], v[4:5], -v[10:11]
	v_cmp_le_f64_e32 vcc_lo, 0.5, v[4:5]
	s_delay_alu instid0(VALU_DEP_3) | instskip(NEXT) | instid1(VALU_DEP_3)
	v_add_f64 v[2:3], v[8:9], v[2:3]
	v_add_f64 v[6:7], v[14:15], -v[6:7]
	v_cndmask_b32_e64 v25, 0, 0x3ff00000, vcc_lo
	v_add_co_ci_u32_e64 v8, s0, 0, v27, vcc_lo
	s_delay_alu instid0(VALU_DEP_2) | instskip(NEXT) | instid1(VALU_DEP_4)
	v_add_f64 v[4:5], v[4:5], -v[24:25]
	v_add_f64 v[2:3], v[2:3], v[6:7]
	s_delay_alu instid0(VALU_DEP_1) | instskip(NEXT) | instid1(VALU_DEP_1)
	v_add_f64 v[6:7], v[4:5], v[2:3]
	v_mul_f64 v[9:10], v[6:7], s[2:3]
	v_add_f64 v[4:5], v[6:7], -v[4:5]
	s_delay_alu instid0(VALU_DEP_2) | instskip(NEXT) | instid1(VALU_DEP_2)
	v_fma_f64 v[11:12], v[6:7], s[2:3], -v[9:10]
	v_add_f64 v[2:3], v[2:3], -v[4:5]
	s_delay_alu instid0(VALU_DEP_2) | instskip(NEXT) | instid1(VALU_DEP_1)
	v_fma_f64 v[4:5], v[6:7], s[4:5], v[11:12]
	v_fma_f64 v[4:5], v[2:3], s[2:3], v[4:5]
	s_delay_alu instid0(VALU_DEP_1) | instskip(NEXT) | instid1(VALU_DEP_1)
	v_add_f64 v[2:3], v[9:10], v[4:5]
	v_add_f64 v[6:7], v[2:3], -v[9:10]
	s_delay_alu instid0(VALU_DEP_1)
	v_add_f64 v[4:5], v[4:5], -v[6:7]
                                        ; implicit-def: $vgpr6_vgpr7
.LBB4_11:
	s_and_not1_saveexec_b32 s0, s1
	s_cbranch_execz .LBB4_13
; %bb.12:
	s_mov_b32 s2, 0x6dc9c883
	s_mov_b32 s3, 0x3fe45f30
	;; [unrolled: 1-line block ×3, first 2 shown]
	s_delay_alu instid0(VALU_DEP_1) | instskip(SKIP_3) | instid1(VALU_DEP_1)
	v_mul_f64 v[2:3], v[6:7], s[2:3]
	s_mov_b32 s2, 0x54442d18
	s_mov_b32 s3, 0xbff921fb
	;; [unrolled: 1-line block ×3, first 2 shown]
	v_rndne_f64_e32 v[8:9], v[2:3]
	s_delay_alu instid0(VALU_DEP_1) | instskip(SKIP_3) | instid1(VALU_DEP_2)
	v_fma_f64 v[2:3], v[8:9], s[2:3], v[6:7]
	v_mul_f64 v[4:5], v[8:9], s[4:5]
	s_mov_b32 s2, 0x252049c0
	s_mov_b32 s3, 0xb97b839a
	v_fma_f64 v[10:11], v[8:9], s[4:5], v[2:3]
	s_delay_alu instid0(VALU_DEP_2) | instskip(SKIP_1) | instid1(VALU_DEP_1)
	v_add_f64 v[6:7], v[2:3], v[4:5]
	s_mov_b32 s5, 0x3c91a626
	v_add_f64 v[2:3], v[2:3], -v[6:7]
	s_delay_alu instid0(VALU_DEP_3) | instskip(NEXT) | instid1(VALU_DEP_2)
	v_add_f64 v[6:7], v[6:7], -v[10:11]
	v_add_f64 v[2:3], v[2:3], v[4:5]
	v_fma_f64 v[4:5], v[8:9], s[4:5], v[4:5]
	s_delay_alu instid0(VALU_DEP_2) | instskip(NEXT) | instid1(VALU_DEP_1)
	v_add_f64 v[2:3], v[6:7], v[2:3]
	v_add_f64 v[2:3], v[2:3], -v[4:5]
	s_delay_alu instid0(VALU_DEP_1) | instskip(SKIP_1) | instid1(VALU_DEP_2)
	v_fma_f64 v[4:5], v[8:9], s[2:3], v[2:3]
	v_cvt_i32_f64_e32 v8, v[8:9]
	v_add_f64 v[2:3], v[10:11], v[4:5]
	s_delay_alu instid0(VALU_DEP_1) | instskip(NEXT) | instid1(VALU_DEP_1)
	v_add_f64 v[6:7], v[2:3], -v[10:11]
	v_add_f64 v[4:5], v[4:5], -v[6:7]
.LBB4_13:
	s_or_b32 exec_lo, exec_lo, s0
	v_mul_f64 v[6:7], v[2:3], v[2:3]
	s_mov_b32 s0, 0xb42fdfa7
	s_mov_b32 s2, 0xf9a43bb8
	;; [unrolled: 1-line block ×4, first 2 shown]
	s_delay_alu instid0(VALU_DEP_2) | instskip(SKIP_1) | instid1(VALU_DEP_3)
	v_mul_f64 v[17:18], v[4:5], 0.5
	v_lshlrev_b64 v[0:1], 2, v[0:1]
	v_fma_f64 v[9:10], v[6:7], s[2:3], s[0:1]
	s_mov_b32 s0, 0x796cde01
	s_mov_b32 s1, 0x3ec71de3
	;; [unrolled: 1-line block ×4, first 2 shown]
	v_mul_f64 v[13:14], v[6:7], 0.5
	v_mul_f64 v[19:20], v[2:3], -v[6:7]
	s_delay_alu instid0(VALU_DEP_3) | instskip(SKIP_2) | instid1(SALU_CYCLE_1)
	v_fma_f64 v[9:10], v[6:7], v[9:10], s[0:1]
	s_mov_b32 s0, 0x46cc5e42
	s_mov_b32 s1, 0xbda907db
	v_fma_f64 v[11:12], v[6:7], s[0:1], s[2:3]
	s_mov_b32 s0, 0x19e83e5c
	s_mov_b32 s1, 0xbf2a01a0
	s_delay_alu instid0(VALU_DEP_4) | instskip(NEXT) | instid1(VALU_DEP_3)
	v_add_f64 v[15:16], -v[13:14], 1.0
	v_fma_f64 v[9:10], v[6:7], v[9:10], s[0:1]
	s_mov_b32 s0, 0xa17f65f6
	s_mov_b32 s1, 0xbe927e4f
	s_delay_alu instid0(VALU_DEP_3) | instid1(SALU_CYCLE_1)
	v_fma_f64 v[11:12], v[6:7], v[11:12], s[0:1]
	s_mov_b32 s0, 0x11110bb3
	s_mov_b32 s1, 0x3f811111
	s_delay_alu instid0(VALU_DEP_3) | instskip(NEXT) | instid1(VALU_DEP_3)
	v_add_f64 v[21:22], -v[15:16], 1.0
	v_fma_f64 v[9:10], v[6:7], v[9:10], s[0:1]
	s_mov_b32 s0, 0x19f4ec90
	s_mov_b32 s1, 0x3efa01a0
	s_delay_alu instid0(VALU_DEP_3) | instid1(SALU_CYCLE_1)
	v_fma_f64 v[11:12], v[6:7], v[11:12], s[0:1]
	s_mov_b32 s0, 0x16c16967
	s_mov_b32 s1, 0xbf56c16c
	s_delay_alu instid0(VALU_DEP_3) | instskip(NEXT) | instid1(VALU_DEP_3)
	v_add_f64 v[13:14], v[21:22], -v[13:14]
	v_fma_f64 v[9:10], v[19:20], v[9:10], v[17:18]
	v_mul_f64 v[17:18], v[6:7], v[6:7]
	s_delay_alu instid0(VALU_DEP_4) | instskip(SKIP_2) | instid1(VALU_DEP_3)
	v_fma_f64 v[11:12], v[6:7], v[11:12], s[0:1]
	s_mov_b32 s1, 0x3fa55555
	s_mov_b32 s0, 0x55555555
	v_fma_f64 v[9:10], v[6:7], v[9:10], -v[4:5]
	v_fma_f64 v[4:5], v[2:3], -v[4:5], v[13:14]
	s_delay_alu instid0(VALU_DEP_3)
	v_fma_f64 v[6:7], v[6:7], v[11:12], s[0:1]
	s_mov_b32 s1, 0xbfc55555
	s_delay_alu instid0(VALU_DEP_3) | instid1(SALU_CYCLE_1)
	v_fma_f64 v[9:10], v[19:20], s[0:1], v[9:10]
	s_delay_alu instid0(VALU_DEP_2) | instskip(NEXT) | instid1(VALU_DEP_2)
	v_fma_f64 v[4:5], v[17:18], v[6:7], v[4:5]
	v_add_f64 v[2:3], v[2:3], -v[9:10]
	s_delay_alu instid0(VALU_DEP_2) | instskip(NEXT) | instid1(VALU_DEP_2)
	v_add_f64 v[4:5], v[15:16], v[4:5]
	v_xor_b32_e32 v3, 0x80000000, v3
	v_and_b32_e32 v6, 1, v8
	s_delay_alu instid0(VALU_DEP_1) | instskip(NEXT) | instid1(VALU_DEP_3)
	v_cmp_eq_u32_e32 vcc_lo, 0, v6
	v_dual_cndmask_b32 v3, v3, v5 :: v_dual_lshlrev_b32 v6, 30, v8
	v_cndmask_b32_e32 v2, v2, v4, vcc_lo
	s_delay_alu instid0(VALU_DEP_2) | instskip(SKIP_2) | instid1(VALU_DEP_3)
	v_and_b32_e32 v4, 0x80000000, v6
	v_add_co_u32 v0, vcc_lo, s16, v0
	v_add_co_ci_u32_e32 v1, vcc_lo, s17, v1, vcc_lo
	v_xor_b32_e32 v3, v3, v4
	s_delay_alu instid0(VALU_DEP_1)
	v_cvt_f32_f64_e32 v2, v[2:3]
	global_store_b32 v[0:1], v2, off
.LBB4_14:
	s_nop 0
	s_sendmsg sendmsg(MSG_DEALLOC_VGPRS)
	s_endpgm
	.section	.rodata,"a",@progbits
	.p2align	6, 0x0
	.amdhsa_kernel _Z11fill_kernelIfZ21hipblaslt_init_deviceIfEv8ABC_dims24hipblaslt_initializationbPT_mmmmmEUlmE3_EvS4_mmT0_
		.amdhsa_group_segment_fixed_size 0
		.amdhsa_private_segment_fixed_size 0
		.amdhsa_kernarg_size 312
		.amdhsa_user_sgpr_count 15
		.amdhsa_user_sgpr_dispatch_ptr 0
		.amdhsa_user_sgpr_queue_ptr 0
		.amdhsa_user_sgpr_kernarg_segment_ptr 1
		.amdhsa_user_sgpr_dispatch_id 0
		.amdhsa_user_sgpr_private_segment_size 0
		.amdhsa_wavefront_size32 1
		.amdhsa_uses_dynamic_stack 0
		.amdhsa_enable_private_segment 0
		.amdhsa_system_sgpr_workgroup_id_x 1
		.amdhsa_system_sgpr_workgroup_id_y 0
		.amdhsa_system_sgpr_workgroup_id_z 0
		.amdhsa_system_sgpr_workgroup_info 0
		.amdhsa_system_vgpr_workitem_id 0
		.amdhsa_next_free_vgpr 33
		.amdhsa_next_free_sgpr 20
		.amdhsa_reserve_vcc 1
		.amdhsa_float_round_mode_32 0
		.amdhsa_float_round_mode_16_64 0
		.amdhsa_float_denorm_mode_32 3
		.amdhsa_float_denorm_mode_16_64 3
		.amdhsa_dx10_clamp 1
		.amdhsa_ieee_mode 1
		.amdhsa_fp16_overflow 0
		.amdhsa_workgroup_processor_mode 1
		.amdhsa_memory_ordered 1
		.amdhsa_forward_progress 0
		.amdhsa_shared_vgpr_count 0
		.amdhsa_exception_fp_ieee_invalid_op 0
		.amdhsa_exception_fp_denorm_src 0
		.amdhsa_exception_fp_ieee_div_zero 0
		.amdhsa_exception_fp_ieee_overflow 0
		.amdhsa_exception_fp_ieee_underflow 0
		.amdhsa_exception_fp_ieee_inexact 0
		.amdhsa_exception_int_div_zero 0
	.end_amdhsa_kernel
	.section	.text._Z11fill_kernelIfZ21hipblaslt_init_deviceIfEv8ABC_dims24hipblaslt_initializationbPT_mmmmmEUlmE3_EvS4_mmT0_,"axG",@progbits,_Z11fill_kernelIfZ21hipblaslt_init_deviceIfEv8ABC_dims24hipblaslt_initializationbPT_mmmmmEUlmE3_EvS4_mmT0_,comdat
.Lfunc_end4:
	.size	_Z11fill_kernelIfZ21hipblaslt_init_deviceIfEv8ABC_dims24hipblaslt_initializationbPT_mmmmmEUlmE3_EvS4_mmT0_, .Lfunc_end4-_Z11fill_kernelIfZ21hipblaslt_init_deviceIfEv8ABC_dims24hipblaslt_initializationbPT_mmmmmEUlmE3_EvS4_mmT0_
                                        ; -- End function
	.section	.AMDGPU.csdata,"",@progbits
; Kernel info:
; codeLenInByte = 3584
; NumSgprs: 22
; NumVgprs: 33
; ScratchSize: 0
; MemoryBound: 0
; FloatMode: 240
; IeeeMode: 1
; LDSByteSize: 0 bytes/workgroup (compile time only)
; SGPRBlocks: 2
; VGPRBlocks: 4
; NumSGPRsForWavesPerEU: 22
; NumVGPRsForWavesPerEU: 33
; Occupancy: 16
; WaveLimiterHint : 0
; COMPUTE_PGM_RSRC2:SCRATCH_EN: 0
; COMPUTE_PGM_RSRC2:USER_SGPR: 15
; COMPUTE_PGM_RSRC2:TRAP_HANDLER: 0
; COMPUTE_PGM_RSRC2:TGID_X_EN: 1
; COMPUTE_PGM_RSRC2:TGID_Y_EN: 0
; COMPUTE_PGM_RSRC2:TGID_Z_EN: 0
; COMPUTE_PGM_RSRC2:TIDIG_COMP_CNT: 0
	.section	.text._Z11fill_kernelIfZ21hipblaslt_init_deviceIfEv8ABC_dims24hipblaslt_initializationbPT_mmmmmEUlmE4_EvS4_mmT0_,"axG",@progbits,_Z11fill_kernelIfZ21hipblaslt_init_deviceIfEv8ABC_dims24hipblaslt_initializationbPT_mmmmmEUlmE4_EvS4_mmT0_,comdat
	.protected	_Z11fill_kernelIfZ21hipblaslt_init_deviceIfEv8ABC_dims24hipblaslt_initializationbPT_mmmmmEUlmE4_EvS4_mmT0_ ; -- Begin function _Z11fill_kernelIfZ21hipblaslt_init_deviceIfEv8ABC_dims24hipblaslt_initializationbPT_mmmmmEUlmE4_EvS4_mmT0_
	.globl	_Z11fill_kernelIfZ21hipblaslt_init_deviceIfEv8ABC_dims24hipblaslt_initializationbPT_mmmmmEUlmE4_EvS4_mmT0_
	.p2align	8
	.type	_Z11fill_kernelIfZ21hipblaslt_init_deviceIfEv8ABC_dims24hipblaslt_initializationbPT_mmmmmEUlmE4_EvS4_mmT0_,@function
_Z11fill_kernelIfZ21hipblaslt_init_deviceIfEv8ABC_dims24hipblaslt_initializationbPT_mmmmmEUlmE4_EvS4_mmT0_: ; @_Z11fill_kernelIfZ21hipblaslt_init_deviceIfEv8ABC_dims24hipblaslt_initializationbPT_mmmmmEUlmE4_EvS4_mmT0_
; %bb.0:
	s_clause 0x1
	s_load_b32 s2, s[0:1], 0x2c
	s_load_b128 s[4:7], s[0:1], 0x0
	s_waitcnt lgkmcnt(0)
	s_and_b32 s2, s2, 0xffff
	s_delay_alu instid0(SALU_CYCLE_1) | instskip(SKIP_2) | instid1(VALU_DEP_1)
	v_mad_u64_u32 v[1:2], null, s15, s2, v[0:1]
	v_mov_b32_e32 v2, 0
	s_mov_b32 s2, exec_lo
	v_cmpx_gt_u64_e64 s[6:7], v[1:2]
	s_cbranch_execz .LBB5_2
; %bb.1:
	s_load_b64 s[0:1], s[0:1], 0x10
	s_mov_b32 s2, 0x19660d
	s_waitcnt lgkmcnt(0)
	v_add_co_u32 v0, s0, v1, s0
	s_delay_alu instid0(VALU_DEP_1) | instskip(SKIP_1) | instid1(VALU_DEP_2)
	v_add_co_ci_u32_e64 v1, null, 0, s1, s0
	s_mov_b32 s0, 0xffe00000
	v_mad_u64_u32 v[2:3], null, v0, s2, 0x3c6ef35f
	s_mov_b32 s1, 0x41efffff
	s_delay_alu instid0(VALU_DEP_1) | instskip(SKIP_1) | instid1(VALU_DEP_2)
	v_mad_u64_u32 v[4:5], null, 0x19660d, v1, v[3:4]
	v_lshlrev_b64 v[0:1], 2, v[0:1]
	v_mov_b32_e32 v3, v4
	s_delay_alu instid0(VALU_DEP_1) | instskip(NEXT) | instid1(VALU_DEP_1)
	v_lshlrev_b64 v[4:5], 13, v[2:3]
	v_xor_b32_e32 v3, v5, v3
	s_delay_alu instid0(VALU_DEP_2) | instskip(NEXT) | instid1(VALU_DEP_1)
	v_xor_b32_e32 v2, v4, v2
	v_lshrrev_b64 v[4:5], 17, v[2:3]
	s_delay_alu instid0(VALU_DEP_1) | instskip(NEXT) | instid1(VALU_DEP_2)
	v_xor_b32_e32 v3, v5, v3
	v_xor_b32_e32 v2, v4, v2
	s_delay_alu instid0(VALU_DEP_1) | instskip(NEXT) | instid1(VALU_DEP_1)
	v_lshlrev_b64 v[4:5], 5, v[2:3]
	v_xor_b32_e32 v3, v5, v3
	s_delay_alu instid0(VALU_DEP_2) | instskip(NEXT) | instid1(VALU_DEP_1)
	v_xor_b32_e32 v2, v4, v2
	v_lshlrev_b64 v[4:5], 13, v[2:3]
	s_delay_alu instid0(VALU_DEP_1) | instskip(NEXT) | instid1(VALU_DEP_2)
	v_xor_b32_e32 v3, v5, v3
	v_xor_b32_e32 v2, v4, v2
	s_delay_alu instid0(VALU_DEP_1) | instskip(NEXT) | instid1(VALU_DEP_1)
	v_lshrrev_b64 v[4:5], 17, v[2:3]
	v_xor_b32_e32 v3, v5, v3
	s_delay_alu instid0(VALU_DEP_2) | instskip(NEXT) | instid1(VALU_DEP_1)
	v_xor_b32_e32 v2, v4, v2
	v_lshlrev_b64 v[4:5], 5, v[2:3]
	s_delay_alu instid0(VALU_DEP_1) | instskip(NEXT) | instid1(VALU_DEP_2)
	v_xor_b32_e32 v3, v5, v3
	v_xor_b32_e32 v2, v4, v2
	s_delay_alu instid0(VALU_DEP_1) | instskip(NEXT) | instid1(VALU_DEP_1)
	v_lshlrev_b64 v[4:5], 13, v[2:3]
	v_xor_b32_e32 v3, v5, v3
	s_delay_alu instid0(VALU_DEP_2) | instskip(NEXT) | instid1(VALU_DEP_1)
	v_xor_b32_e32 v2, v4, v2
	v_alignbit_b32 v3, v3, v2, 17
	s_delay_alu instid0(VALU_DEP_1) | instskip(NEXT) | instid1(VALU_DEP_1)
	v_xor_b32_e32 v2, v3, v2
	v_lshlrev_b32_e32 v3, 5, v2
	s_delay_alu instid0(VALU_DEP_1) | instskip(NEXT) | instid1(VALU_DEP_1)
	v_xor_b32_e32 v2, v3, v2
	v_cvt_f64_u32_e32 v[2:3], v2
	s_delay_alu instid0(VALU_DEP_1) | instskip(NEXT) | instid1(VALU_DEP_1)
	v_div_scale_f64 v[4:5], null, s[0:1], s[0:1], v[2:3]
	v_rcp_f64_e32 v[6:7], v[4:5]
	s_waitcnt_depctr 0xfff
	v_fma_f64 v[8:9], -v[4:5], v[6:7], 1.0
	s_delay_alu instid0(VALU_DEP_1) | instskip(NEXT) | instid1(VALU_DEP_1)
	v_fma_f64 v[6:7], v[6:7], v[8:9], v[6:7]
	v_fma_f64 v[8:9], -v[4:5], v[6:7], 1.0
	s_delay_alu instid0(VALU_DEP_1) | instskip(SKIP_1) | instid1(VALU_DEP_1)
	v_fma_f64 v[6:7], v[6:7], v[8:9], v[6:7]
	v_div_scale_f64 v[8:9], vcc_lo, v[2:3], s[0:1], v[2:3]
	v_mul_f64 v[10:11], v[8:9], v[6:7]
	s_delay_alu instid0(VALU_DEP_1) | instskip(NEXT) | instid1(VALU_DEP_1)
	v_fma_f64 v[4:5], -v[4:5], v[10:11], v[8:9]
	v_div_fmas_f64 v[4:5], v[4:5], v[6:7], v[10:11]
	v_add_co_u32 v0, vcc_lo, s4, v0
	v_add_co_ci_u32_e32 v1, vcc_lo, s5, v1, vcc_lo
	s_delay_alu instid0(VALU_DEP_3) | instskip(NEXT) | instid1(VALU_DEP_1)
	v_div_fixup_f64 v[2:3], v[4:5], s[0:1], v[2:3]
	v_add_f64 v[2:3], v[2:3], -0.5
	s_delay_alu instid0(VALU_DEP_1)
	v_cvt_f32_f64_e32 v2, v[2:3]
	global_store_b32 v[0:1], v2, off
.LBB5_2:
	s_nop 0
	s_sendmsg sendmsg(MSG_DEALLOC_VGPRS)
	s_endpgm
	.section	.rodata,"a",@progbits
	.p2align	6, 0x0
	.amdhsa_kernel _Z11fill_kernelIfZ21hipblaslt_init_deviceIfEv8ABC_dims24hipblaslt_initializationbPT_mmmmmEUlmE4_EvS4_mmT0_
		.amdhsa_group_segment_fixed_size 0
		.amdhsa_private_segment_fixed_size 0
		.amdhsa_kernarg_size 288
		.amdhsa_user_sgpr_count 15
		.amdhsa_user_sgpr_dispatch_ptr 0
		.amdhsa_user_sgpr_queue_ptr 0
		.amdhsa_user_sgpr_kernarg_segment_ptr 1
		.amdhsa_user_sgpr_dispatch_id 0
		.amdhsa_user_sgpr_private_segment_size 0
		.amdhsa_wavefront_size32 1
		.amdhsa_uses_dynamic_stack 0
		.amdhsa_enable_private_segment 0
		.amdhsa_system_sgpr_workgroup_id_x 1
		.amdhsa_system_sgpr_workgroup_id_y 0
		.amdhsa_system_sgpr_workgroup_id_z 0
		.amdhsa_system_sgpr_workgroup_info 0
		.amdhsa_system_vgpr_workitem_id 0
		.amdhsa_next_free_vgpr 12
		.amdhsa_next_free_sgpr 16
		.amdhsa_reserve_vcc 1
		.amdhsa_float_round_mode_32 0
		.amdhsa_float_round_mode_16_64 0
		.amdhsa_float_denorm_mode_32 3
		.amdhsa_float_denorm_mode_16_64 3
		.amdhsa_dx10_clamp 1
		.amdhsa_ieee_mode 1
		.amdhsa_fp16_overflow 0
		.amdhsa_workgroup_processor_mode 1
		.amdhsa_memory_ordered 1
		.amdhsa_forward_progress 0
		.amdhsa_shared_vgpr_count 0
		.amdhsa_exception_fp_ieee_invalid_op 0
		.amdhsa_exception_fp_denorm_src 0
		.amdhsa_exception_fp_ieee_div_zero 0
		.amdhsa_exception_fp_ieee_overflow 0
		.amdhsa_exception_fp_ieee_underflow 0
		.amdhsa_exception_fp_ieee_inexact 0
		.amdhsa_exception_int_div_zero 0
	.end_amdhsa_kernel
	.section	.text._Z11fill_kernelIfZ21hipblaslt_init_deviceIfEv8ABC_dims24hipblaslt_initializationbPT_mmmmmEUlmE4_EvS4_mmT0_,"axG",@progbits,_Z11fill_kernelIfZ21hipblaslt_init_deviceIfEv8ABC_dims24hipblaslt_initializationbPT_mmmmmEUlmE4_EvS4_mmT0_,comdat
.Lfunc_end5:
	.size	_Z11fill_kernelIfZ21hipblaslt_init_deviceIfEv8ABC_dims24hipblaslt_initializationbPT_mmmmmEUlmE4_EvS4_mmT0_, .Lfunc_end5-_Z11fill_kernelIfZ21hipblaslt_init_deviceIfEv8ABC_dims24hipblaslt_initializationbPT_mmmmmEUlmE4_EvS4_mmT0_
                                        ; -- End function
	.section	.AMDGPU.csdata,"",@progbits
; Kernel info:
; codeLenInByte = 504
; NumSgprs: 18
; NumVgprs: 12
; ScratchSize: 0
; MemoryBound: 0
; FloatMode: 240
; IeeeMode: 1
; LDSByteSize: 0 bytes/workgroup (compile time only)
; SGPRBlocks: 2
; VGPRBlocks: 1
; NumSGPRsForWavesPerEU: 18
; NumVGPRsForWavesPerEU: 12
; Occupancy: 16
; WaveLimiterHint : 0
; COMPUTE_PGM_RSRC2:SCRATCH_EN: 0
; COMPUTE_PGM_RSRC2:USER_SGPR: 15
; COMPUTE_PGM_RSRC2:TRAP_HANDLER: 0
; COMPUTE_PGM_RSRC2:TGID_X_EN: 1
; COMPUTE_PGM_RSRC2:TGID_Y_EN: 0
; COMPUTE_PGM_RSRC2:TGID_Z_EN: 0
; COMPUTE_PGM_RSRC2:TIDIG_COMP_CNT: 0
	.section	.text._Z11fill_kernelIfZ21hipblaslt_init_deviceIfEv8ABC_dims24hipblaslt_initializationbPT_mmmmmEUlmE5_EvS4_mmT0_,"axG",@progbits,_Z11fill_kernelIfZ21hipblaslt_init_deviceIfEv8ABC_dims24hipblaslt_initializationbPT_mmmmmEUlmE5_EvS4_mmT0_,comdat
	.protected	_Z11fill_kernelIfZ21hipblaslt_init_deviceIfEv8ABC_dims24hipblaslt_initializationbPT_mmmmmEUlmE5_EvS4_mmT0_ ; -- Begin function _Z11fill_kernelIfZ21hipblaslt_init_deviceIfEv8ABC_dims24hipblaslt_initializationbPT_mmmmmEUlmE5_EvS4_mmT0_
	.globl	_Z11fill_kernelIfZ21hipblaslt_init_deviceIfEv8ABC_dims24hipblaslt_initializationbPT_mmmmmEUlmE5_EvS4_mmT0_
	.p2align	8
	.type	_Z11fill_kernelIfZ21hipblaslt_init_deviceIfEv8ABC_dims24hipblaslt_initializationbPT_mmmmmEUlmE5_EvS4_mmT0_,@function
_Z11fill_kernelIfZ21hipblaslt_init_deviceIfEv8ABC_dims24hipblaslt_initializationbPT_mmmmmEUlmE5_EvS4_mmT0_: ; @_Z11fill_kernelIfZ21hipblaslt_init_deviceIfEv8ABC_dims24hipblaslt_initializationbPT_mmmmmEUlmE5_EvS4_mmT0_
; %bb.0:
	s_clause 0x1
	s_load_b32 s2, s[0:1], 0x2c
	s_load_b128 s[4:7], s[0:1], 0x0
	s_waitcnt lgkmcnt(0)
	s_and_b32 s2, s2, 0xffff
	s_delay_alu instid0(SALU_CYCLE_1) | instskip(SKIP_2) | instid1(VALU_DEP_1)
	v_mad_u64_u32 v[1:2], null, s15, s2, v[0:1]
	v_mov_b32_e32 v2, 0
	s_mov_b32 s2, exec_lo
	v_cmpx_gt_u64_e64 s[6:7], v[1:2]
	s_cbranch_execz .LBB6_2
; %bb.1:
	s_load_b64 s[0:1], s[0:1], 0x10
	v_lshlrev_b64 v[0:1], 2, v[1:2]
	v_mov_b32_e32 v2, 0x477f0000
	s_waitcnt lgkmcnt(0)
	s_lshl_b64 s[0:1], s[0:1], 2
	s_delay_alu instid0(SALU_CYCLE_1)
	s_add_u32 s0, s0, s4
	s_addc_u32 s1, s1, s5
	v_add_co_u32 v0, vcc_lo, s0, v0
	v_add_co_ci_u32_e32 v1, vcc_lo, s1, v1, vcc_lo
	global_store_b32 v[0:1], v2, off
.LBB6_2:
	s_nop 0
	s_sendmsg sendmsg(MSG_DEALLOC_VGPRS)
	s_endpgm
	.section	.rodata,"a",@progbits
	.p2align	6, 0x0
	.amdhsa_kernel _Z11fill_kernelIfZ21hipblaslt_init_deviceIfEv8ABC_dims24hipblaslt_initializationbPT_mmmmmEUlmE5_EvS4_mmT0_
		.amdhsa_group_segment_fixed_size 0
		.amdhsa_private_segment_fixed_size 0
		.amdhsa_kernarg_size 288
		.amdhsa_user_sgpr_count 15
		.amdhsa_user_sgpr_dispatch_ptr 0
		.amdhsa_user_sgpr_queue_ptr 0
		.amdhsa_user_sgpr_kernarg_segment_ptr 1
		.amdhsa_user_sgpr_dispatch_id 0
		.amdhsa_user_sgpr_private_segment_size 0
		.amdhsa_wavefront_size32 1
		.amdhsa_uses_dynamic_stack 0
		.amdhsa_enable_private_segment 0
		.amdhsa_system_sgpr_workgroup_id_x 1
		.amdhsa_system_sgpr_workgroup_id_y 0
		.amdhsa_system_sgpr_workgroup_id_z 0
		.amdhsa_system_sgpr_workgroup_info 0
		.amdhsa_system_vgpr_workitem_id 0
		.amdhsa_next_free_vgpr 3
		.amdhsa_next_free_sgpr 16
		.amdhsa_reserve_vcc 1
		.amdhsa_float_round_mode_32 0
		.amdhsa_float_round_mode_16_64 0
		.amdhsa_float_denorm_mode_32 3
		.amdhsa_float_denorm_mode_16_64 3
		.amdhsa_dx10_clamp 1
		.amdhsa_ieee_mode 1
		.amdhsa_fp16_overflow 0
		.amdhsa_workgroup_processor_mode 1
		.amdhsa_memory_ordered 1
		.amdhsa_forward_progress 0
		.amdhsa_shared_vgpr_count 0
		.amdhsa_exception_fp_ieee_invalid_op 0
		.amdhsa_exception_fp_denorm_src 0
		.amdhsa_exception_fp_ieee_div_zero 0
		.amdhsa_exception_fp_ieee_overflow 0
		.amdhsa_exception_fp_ieee_underflow 0
		.amdhsa_exception_fp_ieee_inexact 0
		.amdhsa_exception_int_div_zero 0
	.end_amdhsa_kernel
	.section	.text._Z11fill_kernelIfZ21hipblaslt_init_deviceIfEv8ABC_dims24hipblaslt_initializationbPT_mmmmmEUlmE5_EvS4_mmT0_,"axG",@progbits,_Z11fill_kernelIfZ21hipblaslt_init_deviceIfEv8ABC_dims24hipblaslt_initializationbPT_mmmmmEUlmE5_EvS4_mmT0_,comdat
.Lfunc_end6:
	.size	_Z11fill_kernelIfZ21hipblaslt_init_deviceIfEv8ABC_dims24hipblaslt_initializationbPT_mmmmmEUlmE5_EvS4_mmT0_, .Lfunc_end6-_Z11fill_kernelIfZ21hipblaslt_init_deviceIfEv8ABC_dims24hipblaslt_initializationbPT_mmmmmEUlmE5_EvS4_mmT0_
                                        ; -- End function
	.section	.AMDGPU.csdata,"",@progbits
; Kernel info:
; codeLenInByte = 140
; NumSgprs: 18
; NumVgprs: 3
; ScratchSize: 0
; MemoryBound: 0
; FloatMode: 240
; IeeeMode: 1
; LDSByteSize: 0 bytes/workgroup (compile time only)
; SGPRBlocks: 2
; VGPRBlocks: 0
; NumSGPRsForWavesPerEU: 18
; NumVGPRsForWavesPerEU: 3
; Occupancy: 16
; WaveLimiterHint : 0
; COMPUTE_PGM_RSRC2:SCRATCH_EN: 0
; COMPUTE_PGM_RSRC2:USER_SGPR: 15
; COMPUTE_PGM_RSRC2:TRAP_HANDLER: 0
; COMPUTE_PGM_RSRC2:TGID_X_EN: 1
; COMPUTE_PGM_RSRC2:TGID_Y_EN: 0
; COMPUTE_PGM_RSRC2:TGID_Z_EN: 0
; COMPUTE_PGM_RSRC2:TIDIG_COMP_CNT: 0
	.section	.text._Z11fill_kernelIfZ21hipblaslt_init_deviceIfEv8ABC_dims24hipblaslt_initializationbPT_mmmmmEUlmE6_EvS4_mmT0_,"axG",@progbits,_Z11fill_kernelIfZ21hipblaslt_init_deviceIfEv8ABC_dims24hipblaslt_initializationbPT_mmmmmEUlmE6_EvS4_mmT0_,comdat
	.protected	_Z11fill_kernelIfZ21hipblaslt_init_deviceIfEv8ABC_dims24hipblaslt_initializationbPT_mmmmmEUlmE6_EvS4_mmT0_ ; -- Begin function _Z11fill_kernelIfZ21hipblaslt_init_deviceIfEv8ABC_dims24hipblaslt_initializationbPT_mmmmmEUlmE6_EvS4_mmT0_
	.globl	_Z11fill_kernelIfZ21hipblaslt_init_deviceIfEv8ABC_dims24hipblaslt_initializationbPT_mmmmmEUlmE6_EvS4_mmT0_
	.p2align	8
	.type	_Z11fill_kernelIfZ21hipblaslt_init_deviceIfEv8ABC_dims24hipblaslt_initializationbPT_mmmmmEUlmE6_EvS4_mmT0_,@function
_Z11fill_kernelIfZ21hipblaslt_init_deviceIfEv8ABC_dims24hipblaslt_initializationbPT_mmmmmEUlmE6_EvS4_mmT0_: ; @_Z11fill_kernelIfZ21hipblaslt_init_deviceIfEv8ABC_dims24hipblaslt_initializationbPT_mmmmmEUlmE6_EvS4_mmT0_
; %bb.0:
	s_clause 0x1
	s_load_b32 s2, s[0:1], 0x2c
	s_load_b128 s[4:7], s[0:1], 0x0
	s_waitcnt lgkmcnt(0)
	s_and_b32 s2, s2, 0xffff
	s_delay_alu instid0(SALU_CYCLE_1) | instskip(SKIP_2) | instid1(VALU_DEP_1)
	v_mad_u64_u32 v[1:2], null, s15, s2, v[0:1]
	v_mov_b32_e32 v2, 0
	s_mov_b32 s2, exec_lo
	v_cmpx_gt_u64_e64 s[6:7], v[1:2]
	s_cbranch_execz .LBB7_2
; %bb.1:
	s_load_b64 s[0:1], s[0:1], 0x10
	v_lshlrev_b64 v[0:1], 2, v[1:2]
	v_mov_b32_e32 v2, 0x387f0000
	s_waitcnt lgkmcnt(0)
	s_lshl_b64 s[0:1], s[0:1], 2
	s_delay_alu instid0(SALU_CYCLE_1)
	s_add_u32 s0, s0, s4
	s_addc_u32 s1, s1, s5
	v_add_co_u32 v0, vcc_lo, s0, v0
	v_add_co_ci_u32_e32 v1, vcc_lo, s1, v1, vcc_lo
	global_store_b32 v[0:1], v2, off
.LBB7_2:
	s_nop 0
	s_sendmsg sendmsg(MSG_DEALLOC_VGPRS)
	s_endpgm
	.section	.rodata,"a",@progbits
	.p2align	6, 0x0
	.amdhsa_kernel _Z11fill_kernelIfZ21hipblaslt_init_deviceIfEv8ABC_dims24hipblaslt_initializationbPT_mmmmmEUlmE6_EvS4_mmT0_
		.amdhsa_group_segment_fixed_size 0
		.amdhsa_private_segment_fixed_size 0
		.amdhsa_kernarg_size 288
		.amdhsa_user_sgpr_count 15
		.amdhsa_user_sgpr_dispatch_ptr 0
		.amdhsa_user_sgpr_queue_ptr 0
		.amdhsa_user_sgpr_kernarg_segment_ptr 1
		.amdhsa_user_sgpr_dispatch_id 0
		.amdhsa_user_sgpr_private_segment_size 0
		.amdhsa_wavefront_size32 1
		.amdhsa_uses_dynamic_stack 0
		.amdhsa_enable_private_segment 0
		.amdhsa_system_sgpr_workgroup_id_x 1
		.amdhsa_system_sgpr_workgroup_id_y 0
		.amdhsa_system_sgpr_workgroup_id_z 0
		.amdhsa_system_sgpr_workgroup_info 0
		.amdhsa_system_vgpr_workitem_id 0
		.amdhsa_next_free_vgpr 3
		.amdhsa_next_free_sgpr 16
		.amdhsa_reserve_vcc 1
		.amdhsa_float_round_mode_32 0
		.amdhsa_float_round_mode_16_64 0
		.amdhsa_float_denorm_mode_32 3
		.amdhsa_float_denorm_mode_16_64 3
		.amdhsa_dx10_clamp 1
		.amdhsa_ieee_mode 1
		.amdhsa_fp16_overflow 0
		.amdhsa_workgroup_processor_mode 1
		.amdhsa_memory_ordered 1
		.amdhsa_forward_progress 0
		.amdhsa_shared_vgpr_count 0
		.amdhsa_exception_fp_ieee_invalid_op 0
		.amdhsa_exception_fp_denorm_src 0
		.amdhsa_exception_fp_ieee_div_zero 0
		.amdhsa_exception_fp_ieee_overflow 0
		.amdhsa_exception_fp_ieee_underflow 0
		.amdhsa_exception_fp_ieee_inexact 0
		.amdhsa_exception_int_div_zero 0
	.end_amdhsa_kernel
	.section	.text._Z11fill_kernelIfZ21hipblaslt_init_deviceIfEv8ABC_dims24hipblaslt_initializationbPT_mmmmmEUlmE6_EvS4_mmT0_,"axG",@progbits,_Z11fill_kernelIfZ21hipblaslt_init_deviceIfEv8ABC_dims24hipblaslt_initializationbPT_mmmmmEUlmE6_EvS4_mmT0_,comdat
.Lfunc_end7:
	.size	_Z11fill_kernelIfZ21hipblaslt_init_deviceIfEv8ABC_dims24hipblaslt_initializationbPT_mmmmmEUlmE6_EvS4_mmT0_, .Lfunc_end7-_Z11fill_kernelIfZ21hipblaslt_init_deviceIfEv8ABC_dims24hipblaslt_initializationbPT_mmmmmEUlmE6_EvS4_mmT0_
                                        ; -- End function
	.section	.AMDGPU.csdata,"",@progbits
; Kernel info:
; codeLenInByte = 140
; NumSgprs: 18
; NumVgprs: 3
; ScratchSize: 0
; MemoryBound: 0
; FloatMode: 240
; IeeeMode: 1
; LDSByteSize: 0 bytes/workgroup (compile time only)
; SGPRBlocks: 2
; VGPRBlocks: 0
; NumSGPRsForWavesPerEU: 18
; NumVGPRsForWavesPerEU: 3
; Occupancy: 16
; WaveLimiterHint : 0
; COMPUTE_PGM_RSRC2:SCRATCH_EN: 0
; COMPUTE_PGM_RSRC2:USER_SGPR: 15
; COMPUTE_PGM_RSRC2:TRAP_HANDLER: 0
; COMPUTE_PGM_RSRC2:TGID_X_EN: 1
; COMPUTE_PGM_RSRC2:TGID_Y_EN: 0
; COMPUTE_PGM_RSRC2:TGID_Z_EN: 0
; COMPUTE_PGM_RSRC2:TIDIG_COMP_CNT: 0
	.section	.text._Z11fill_kernelIfZ21hipblaslt_init_deviceIfEv8ABC_dims24hipblaslt_initializationbPT_mmmmmEUlmE7_EvS4_mmT0_,"axG",@progbits,_Z11fill_kernelIfZ21hipblaslt_init_deviceIfEv8ABC_dims24hipblaslt_initializationbPT_mmmmmEUlmE7_EvS4_mmT0_,comdat
	.protected	_Z11fill_kernelIfZ21hipblaslt_init_deviceIfEv8ABC_dims24hipblaslt_initializationbPT_mmmmmEUlmE7_EvS4_mmT0_ ; -- Begin function _Z11fill_kernelIfZ21hipblaslt_init_deviceIfEv8ABC_dims24hipblaslt_initializationbPT_mmmmmEUlmE7_EvS4_mmT0_
	.globl	_Z11fill_kernelIfZ21hipblaslt_init_deviceIfEv8ABC_dims24hipblaslt_initializationbPT_mmmmmEUlmE7_EvS4_mmT0_
	.p2align	8
	.type	_Z11fill_kernelIfZ21hipblaslt_init_deviceIfEv8ABC_dims24hipblaslt_initializationbPT_mmmmmEUlmE7_EvS4_mmT0_,@function
_Z11fill_kernelIfZ21hipblaslt_init_deviceIfEv8ABC_dims24hipblaslt_initializationbPT_mmmmmEUlmE7_EvS4_mmT0_: ; @_Z11fill_kernelIfZ21hipblaslt_init_deviceIfEv8ABC_dims24hipblaslt_initializationbPT_mmmmmEUlmE7_EvS4_mmT0_
; %bb.0:
	s_clause 0x1
	s_load_b32 s2, s[0:1], 0x2c
	s_load_b128 s[4:7], s[0:1], 0x0
	s_waitcnt lgkmcnt(0)
	s_and_b32 s2, s2, 0xffff
	s_delay_alu instid0(SALU_CYCLE_1) | instskip(SKIP_2) | instid1(VALU_DEP_1)
	v_mad_u64_u32 v[1:2], null, s15, s2, v[0:1]
	v_mov_b32_e32 v2, 0
	s_mov_b32 s2, exec_lo
	v_cmpx_gt_u64_e64 s[6:7], v[1:2]
	s_cbranch_execz .LBB8_2
; %bb.1:
	s_load_b64 s[0:1], s[0:1], 0x10
	s_mov_b32 s2, 0x19660d
	s_waitcnt lgkmcnt(0)
	v_add_co_u32 v0, s0, v1, s0
	s_delay_alu instid0(VALU_DEP_1) | instskip(NEXT) | instid1(VALU_DEP_2)
	v_add_co_ci_u32_e64 v1, null, 0, s1, s0
	v_mad_u64_u32 v[2:3], null, v0, s2, 0x3c6ef35f
	s_delay_alu instid0(VALU_DEP_1) | instskip(SKIP_1) | instid1(VALU_DEP_1)
	v_mad_u64_u32 v[4:5], null, 0x19660d, v1, v[3:4]
	v_lshlrev_b64 v[0:1], 2, v[0:1]
	v_add_co_u32 v0, vcc_lo, s4, v0
	s_delay_alu instid0(VALU_DEP_3) | instskip(NEXT) | instid1(VALU_DEP_3)
	v_mov_b32_e32 v3, v4
	v_add_co_ci_u32_e32 v1, vcc_lo, s5, v1, vcc_lo
	s_delay_alu instid0(VALU_DEP_2) | instskip(NEXT) | instid1(VALU_DEP_1)
	v_lshlrev_b64 v[4:5], 13, v[2:3]
	v_xor_b32_e32 v3, v5, v3
	s_delay_alu instid0(VALU_DEP_2) | instskip(NEXT) | instid1(VALU_DEP_1)
	v_xor_b32_e32 v2, v4, v2
	v_lshrrev_b64 v[4:5], 17, v[2:3]
	s_delay_alu instid0(VALU_DEP_1) | instskip(NEXT) | instid1(VALU_DEP_2)
	v_xor_b32_e32 v3, v5, v3
	v_xor_b32_e32 v2, v4, v2
	s_delay_alu instid0(VALU_DEP_1) | instskip(NEXT) | instid1(VALU_DEP_1)
	v_lshlrev_b64 v[4:5], 5, v[2:3]
	v_xor_b32_e32 v3, v5, v3
	s_delay_alu instid0(VALU_DEP_2) | instskip(NEXT) | instid1(VALU_DEP_1)
	v_xor_b32_e32 v2, v4, v2
	v_lshlrev_b64 v[4:5], 13, v[2:3]
	s_delay_alu instid0(VALU_DEP_1) | instskip(NEXT) | instid1(VALU_DEP_2)
	v_xor_b32_e32 v3, v5, v3
	v_xor_b32_e32 v2, v4, v2
	s_delay_alu instid0(VALU_DEP_1) | instskip(NEXT) | instid1(VALU_DEP_1)
	v_lshrrev_b64 v[4:5], 17, v[2:3]
	v_xor_b32_e32 v3, v5, v3
	s_delay_alu instid0(VALU_DEP_2) | instskip(NEXT) | instid1(VALU_DEP_1)
	v_xor_b32_e32 v2, v4, v2
	v_lshlrev_b64 v[4:5], 5, v[2:3]
	s_delay_alu instid0(VALU_DEP_1) | instskip(NEXT) | instid1(VALU_DEP_2)
	v_xor_b32_e32 v3, v5, v3
	v_xor_b32_e32 v2, v4, v2
	s_delay_alu instid0(VALU_DEP_1) | instskip(NEXT) | instid1(VALU_DEP_1)
	v_lshlrev_b64 v[4:5], 13, v[2:3]
	v_xor_b32_e32 v3, v5, v3
	s_delay_alu instid0(VALU_DEP_2) | instskip(NEXT) | instid1(VALU_DEP_1)
	v_xor_b32_e32 v2, v4, v2
	v_alignbit_b32 v3, v3, v2, 17
	s_delay_alu instid0(VALU_DEP_1) | instskip(NEXT) | instid1(VALU_DEP_1)
	v_xor_b32_e32 v2, v3, v2
	v_lshlrev_b32_e32 v3, 5, v2
	s_delay_alu instid0(VALU_DEP_1) | instskip(NEXT) | instid1(VALU_DEP_1)
	v_xor_b32_e32 v2, v3, v2
	v_mul_hi_u32 v3, 0xcccccccd, v2
	s_delay_alu instid0(VALU_DEP_1) | instskip(NEXT) | instid1(VALU_DEP_1)
	v_lshrrev_b32_e32 v3, 3, v3
	v_mul_lo_u32 v3, v3, 10
	s_delay_alu instid0(VALU_DEP_1) | instskip(NEXT) | instid1(VALU_DEP_1)
	v_sub_nc_u32_e32 v2, v2, v3
	v_add_nc_u32_e32 v2, 1, v2
	s_delay_alu instid0(VALU_DEP_1)
	v_cvt_f32_u32_e32 v2, v2
	global_store_b32 v[0:1], v2, off
.LBB8_2:
	s_nop 0
	s_sendmsg sendmsg(MSG_DEALLOC_VGPRS)
	s_endpgm
	.section	.rodata,"a",@progbits
	.p2align	6, 0x0
	.amdhsa_kernel _Z11fill_kernelIfZ21hipblaslt_init_deviceIfEv8ABC_dims24hipblaslt_initializationbPT_mmmmmEUlmE7_EvS4_mmT0_
		.amdhsa_group_segment_fixed_size 0
		.amdhsa_private_segment_fixed_size 0
		.amdhsa_kernarg_size 288
		.amdhsa_user_sgpr_count 15
		.amdhsa_user_sgpr_dispatch_ptr 0
		.amdhsa_user_sgpr_queue_ptr 0
		.amdhsa_user_sgpr_kernarg_segment_ptr 1
		.amdhsa_user_sgpr_dispatch_id 0
		.amdhsa_user_sgpr_private_segment_size 0
		.amdhsa_wavefront_size32 1
		.amdhsa_uses_dynamic_stack 0
		.amdhsa_enable_private_segment 0
		.amdhsa_system_sgpr_workgroup_id_x 1
		.amdhsa_system_sgpr_workgroup_id_y 0
		.amdhsa_system_sgpr_workgroup_id_z 0
		.amdhsa_system_sgpr_workgroup_info 0
		.amdhsa_system_vgpr_workitem_id 0
		.amdhsa_next_free_vgpr 6
		.amdhsa_next_free_sgpr 16
		.amdhsa_reserve_vcc 1
		.amdhsa_float_round_mode_32 0
		.amdhsa_float_round_mode_16_64 0
		.amdhsa_float_denorm_mode_32 3
		.amdhsa_float_denorm_mode_16_64 3
		.amdhsa_dx10_clamp 1
		.amdhsa_ieee_mode 1
		.amdhsa_fp16_overflow 0
		.amdhsa_workgroup_processor_mode 1
		.amdhsa_memory_ordered 1
		.amdhsa_forward_progress 0
		.amdhsa_shared_vgpr_count 0
		.amdhsa_exception_fp_ieee_invalid_op 0
		.amdhsa_exception_fp_denorm_src 0
		.amdhsa_exception_fp_ieee_div_zero 0
		.amdhsa_exception_fp_ieee_overflow 0
		.amdhsa_exception_fp_ieee_underflow 0
		.amdhsa_exception_fp_ieee_inexact 0
		.amdhsa_exception_int_div_zero 0
	.end_amdhsa_kernel
	.section	.text._Z11fill_kernelIfZ21hipblaslt_init_deviceIfEv8ABC_dims24hipblaslt_initializationbPT_mmmmmEUlmE7_EvS4_mmT0_,"axG",@progbits,_Z11fill_kernelIfZ21hipblaslt_init_deviceIfEv8ABC_dims24hipblaslt_initializationbPT_mmmmmEUlmE7_EvS4_mmT0_,comdat
.Lfunc_end8:
	.size	_Z11fill_kernelIfZ21hipblaslt_init_deviceIfEv8ABC_dims24hipblaslt_initializationbPT_mmmmmEUlmE7_EvS4_mmT0_, .Lfunc_end8-_Z11fill_kernelIfZ21hipblaslt_init_deviceIfEv8ABC_dims24hipblaslt_initializationbPT_mmmmmEUlmE7_EvS4_mmT0_
                                        ; -- End function
	.section	.AMDGPU.csdata,"",@progbits
; Kernel info:
; codeLenInByte = 412
; NumSgprs: 18
; NumVgprs: 6
; ScratchSize: 0
; MemoryBound: 0
; FloatMode: 240
; IeeeMode: 1
; LDSByteSize: 0 bytes/workgroup (compile time only)
; SGPRBlocks: 2
; VGPRBlocks: 0
; NumSGPRsForWavesPerEU: 18
; NumVGPRsForWavesPerEU: 6
; Occupancy: 16
; WaveLimiterHint : 0
; COMPUTE_PGM_RSRC2:SCRATCH_EN: 0
; COMPUTE_PGM_RSRC2:USER_SGPR: 15
; COMPUTE_PGM_RSRC2:TRAP_HANDLER: 0
; COMPUTE_PGM_RSRC2:TGID_X_EN: 1
; COMPUTE_PGM_RSRC2:TGID_Y_EN: 0
; COMPUTE_PGM_RSRC2:TGID_Z_EN: 0
; COMPUTE_PGM_RSRC2:TIDIG_COMP_CNT: 0
	.section	.text._Z11fill_kernelIfZ21hipblaslt_init_deviceIfEv8ABC_dims24hipblaslt_initializationbPT_mmmmmEUlmE8_EvS4_mmT0_,"axG",@progbits,_Z11fill_kernelIfZ21hipblaslt_init_deviceIfEv8ABC_dims24hipblaslt_initializationbPT_mmmmmEUlmE8_EvS4_mmT0_,comdat
	.protected	_Z11fill_kernelIfZ21hipblaslt_init_deviceIfEv8ABC_dims24hipblaslt_initializationbPT_mmmmmEUlmE8_EvS4_mmT0_ ; -- Begin function _Z11fill_kernelIfZ21hipblaslt_init_deviceIfEv8ABC_dims24hipblaslt_initializationbPT_mmmmmEUlmE8_EvS4_mmT0_
	.globl	_Z11fill_kernelIfZ21hipblaslt_init_deviceIfEv8ABC_dims24hipblaslt_initializationbPT_mmmmmEUlmE8_EvS4_mmT0_
	.p2align	8
	.type	_Z11fill_kernelIfZ21hipblaslt_init_deviceIfEv8ABC_dims24hipblaslt_initializationbPT_mmmmmEUlmE8_EvS4_mmT0_,@function
_Z11fill_kernelIfZ21hipblaslt_init_deviceIfEv8ABC_dims24hipblaslt_initializationbPT_mmmmmEUlmE8_EvS4_mmT0_: ; @_Z11fill_kernelIfZ21hipblaslt_init_deviceIfEv8ABC_dims24hipblaslt_initializationbPT_mmmmmEUlmE8_EvS4_mmT0_
; %bb.0:
	s_clause 0x1
	s_load_b32 s2, s[0:1], 0x2c
	s_load_b128 s[4:7], s[0:1], 0x0
	s_waitcnt lgkmcnt(0)
	s_and_b32 s2, s2, 0xffff
	s_delay_alu instid0(SALU_CYCLE_1) | instskip(SKIP_2) | instid1(VALU_DEP_1)
	v_mad_u64_u32 v[1:2], null, s15, s2, v[0:1]
	v_mov_b32_e32 v2, 0
	s_mov_b32 s2, exec_lo
	v_cmpx_gt_u64_e64 s[6:7], v[1:2]
	s_cbranch_execz .LBB9_2
; %bb.1:
	s_load_b64 s[0:1], s[0:1], 0x10
	v_lshlrev_b64 v[0:1], 2, v[1:2]
	s_waitcnt lgkmcnt(0)
	s_lshl_b64 s[0:1], s[0:1], 2
	s_delay_alu instid0(SALU_CYCLE_1) | instskip(SKIP_1) | instid1(VALU_DEP_1)
	s_add_u32 s0, s0, s4
	s_addc_u32 s1, s1, s5
	v_add_co_u32 v0, vcc_lo, s0, v0
	v_add_co_ci_u32_e32 v1, vcc_lo, s1, v1, vcc_lo
	global_store_b32 v[0:1], v2, off
.LBB9_2:
	s_nop 0
	s_sendmsg sendmsg(MSG_DEALLOC_VGPRS)
	s_endpgm
	.section	.rodata,"a",@progbits
	.p2align	6, 0x0
	.amdhsa_kernel _Z11fill_kernelIfZ21hipblaslt_init_deviceIfEv8ABC_dims24hipblaslt_initializationbPT_mmmmmEUlmE8_EvS4_mmT0_
		.amdhsa_group_segment_fixed_size 0
		.amdhsa_private_segment_fixed_size 0
		.amdhsa_kernarg_size 288
		.amdhsa_user_sgpr_count 15
		.amdhsa_user_sgpr_dispatch_ptr 0
		.amdhsa_user_sgpr_queue_ptr 0
		.amdhsa_user_sgpr_kernarg_segment_ptr 1
		.amdhsa_user_sgpr_dispatch_id 0
		.amdhsa_user_sgpr_private_segment_size 0
		.amdhsa_wavefront_size32 1
		.amdhsa_uses_dynamic_stack 0
		.amdhsa_enable_private_segment 0
		.amdhsa_system_sgpr_workgroup_id_x 1
		.amdhsa_system_sgpr_workgroup_id_y 0
		.amdhsa_system_sgpr_workgroup_id_z 0
		.amdhsa_system_sgpr_workgroup_info 0
		.amdhsa_system_vgpr_workitem_id 0
		.amdhsa_next_free_vgpr 3
		.amdhsa_next_free_sgpr 16
		.amdhsa_reserve_vcc 1
		.amdhsa_float_round_mode_32 0
		.amdhsa_float_round_mode_16_64 0
		.amdhsa_float_denorm_mode_32 3
		.amdhsa_float_denorm_mode_16_64 3
		.amdhsa_dx10_clamp 1
		.amdhsa_ieee_mode 1
		.amdhsa_fp16_overflow 0
		.amdhsa_workgroup_processor_mode 1
		.amdhsa_memory_ordered 1
		.amdhsa_forward_progress 0
		.amdhsa_shared_vgpr_count 0
		.amdhsa_exception_fp_ieee_invalid_op 0
		.amdhsa_exception_fp_denorm_src 0
		.amdhsa_exception_fp_ieee_div_zero 0
		.amdhsa_exception_fp_ieee_overflow 0
		.amdhsa_exception_fp_ieee_underflow 0
		.amdhsa_exception_fp_ieee_inexact 0
		.amdhsa_exception_int_div_zero 0
	.end_amdhsa_kernel
	.section	.text._Z11fill_kernelIfZ21hipblaslt_init_deviceIfEv8ABC_dims24hipblaslt_initializationbPT_mmmmmEUlmE8_EvS4_mmT0_,"axG",@progbits,_Z11fill_kernelIfZ21hipblaslt_init_deviceIfEv8ABC_dims24hipblaslt_initializationbPT_mmmmmEUlmE8_EvS4_mmT0_,comdat
.Lfunc_end9:
	.size	_Z11fill_kernelIfZ21hipblaslt_init_deviceIfEv8ABC_dims24hipblaslt_initializationbPT_mmmmmEUlmE8_EvS4_mmT0_, .Lfunc_end9-_Z11fill_kernelIfZ21hipblaslt_init_deviceIfEv8ABC_dims24hipblaslt_initializationbPT_mmmmmEUlmE8_EvS4_mmT0_
                                        ; -- End function
	.section	.AMDGPU.csdata,"",@progbits
; Kernel info:
; codeLenInByte = 132
; NumSgprs: 18
; NumVgprs: 3
; ScratchSize: 0
; MemoryBound: 0
; FloatMode: 240
; IeeeMode: 1
; LDSByteSize: 0 bytes/workgroup (compile time only)
; SGPRBlocks: 2
; VGPRBlocks: 0
; NumSGPRsForWavesPerEU: 18
; NumVGPRsForWavesPerEU: 3
; Occupancy: 16
; WaveLimiterHint : 0
; COMPUTE_PGM_RSRC2:SCRATCH_EN: 0
; COMPUTE_PGM_RSRC2:USER_SGPR: 15
; COMPUTE_PGM_RSRC2:TRAP_HANDLER: 0
; COMPUTE_PGM_RSRC2:TGID_X_EN: 1
; COMPUTE_PGM_RSRC2:TGID_Y_EN: 0
; COMPUTE_PGM_RSRC2:TGID_Z_EN: 0
; COMPUTE_PGM_RSRC2:TIDIG_COMP_CNT: 0
	.section	.text._Z11fill_kernelIfZ21hipblaslt_init_deviceIfEv8ABC_dims24hipblaslt_initializationbPT_mmmmmEUlmE9_EvS4_mmT0_,"axG",@progbits,_Z11fill_kernelIfZ21hipblaslt_init_deviceIfEv8ABC_dims24hipblaslt_initializationbPT_mmmmmEUlmE9_EvS4_mmT0_,comdat
	.protected	_Z11fill_kernelIfZ21hipblaslt_init_deviceIfEv8ABC_dims24hipblaslt_initializationbPT_mmmmmEUlmE9_EvS4_mmT0_ ; -- Begin function _Z11fill_kernelIfZ21hipblaslt_init_deviceIfEv8ABC_dims24hipblaslt_initializationbPT_mmmmmEUlmE9_EvS4_mmT0_
	.globl	_Z11fill_kernelIfZ21hipblaslt_init_deviceIfEv8ABC_dims24hipblaslt_initializationbPT_mmmmmEUlmE9_EvS4_mmT0_
	.p2align	8
	.type	_Z11fill_kernelIfZ21hipblaslt_init_deviceIfEv8ABC_dims24hipblaslt_initializationbPT_mmmmmEUlmE9_EvS4_mmT0_,@function
_Z11fill_kernelIfZ21hipblaslt_init_deviceIfEv8ABC_dims24hipblaslt_initializationbPT_mmmmmEUlmE9_EvS4_mmT0_: ; @_Z11fill_kernelIfZ21hipblaslt_init_deviceIfEv8ABC_dims24hipblaslt_initializationbPT_mmmmmEUlmE9_EvS4_mmT0_
; %bb.0:
	s_clause 0x1
	s_load_b32 s2, s[0:1], 0x2c
	s_load_b128 s[4:7], s[0:1], 0x0
	s_waitcnt lgkmcnt(0)
	s_and_b32 s2, s2, 0xffff
	s_delay_alu instid0(SALU_CYCLE_1) | instskip(SKIP_2) | instid1(VALU_DEP_1)
	v_mad_u64_u32 v[1:2], null, s15, s2, v[0:1]
	v_mov_b32_e32 v2, 0
	s_mov_b32 s2, exec_lo
	v_cmpx_gt_u64_e64 s[6:7], v[1:2]
	s_cbranch_execz .LBB10_6
; %bb.1:
	s_clause 0x1
	s_load_b64 s[2:3], s[0:1], 0x10
	s_load_b32 s0, s[0:1], 0x18
	s_waitcnt lgkmcnt(0)
	v_add_co_u32 v0, s1, v1, s2
	s_delay_alu instid0(VALU_DEP_1) | instskip(NEXT) | instid1(VALU_DEP_2)
	v_add_co_ci_u32_e64 v1, null, 0, s3, s1
	v_add_nc_u32_e32 v6, s0, v0
	s_mov_b32 s0, 0xb90ffb1d
	s_delay_alu instid0(VALU_DEP_1) | instid1(SALU_CYCLE_1)
	v_mad_u64_u32 v[2:3], null, v6, s0, 0xdc6d3ef
	v_mad_u64_u32 v[3:4], null, 0x10dcd, v6, 1
	s_mov_b32 s0, 0x6ab9d291
	s_delay_alu instid0(VALU_DEP_2) | instskip(NEXT) | instid1(VALU_DEP_2)
	v_lshrrev_b32_e32 v5, 2, v2
	v_lshlrev_b32_e32 v7, 4, v3
	s_delay_alu instid0(VALU_DEP_2) | instskip(SKIP_2) | instid1(VALU_DEP_2)
	v_xor_b32_e32 v2, v5, v2
	v_mad_u64_u32 v[4:5], null, v6, s0, 0xffffffffdfb3c992
	s_mov_b32 s0, exec_lo
	v_lshlrev_b32_e32 v5, 1, v2
	s_delay_alu instid0(VALU_DEP_2) | instskip(NEXT) | instid1(VALU_DEP_2)
	v_lshrrev_b32_e32 v8, 2, v4
	v_xor_b32_e32 v5, v7, v5
	s_delay_alu instid0(VALU_DEP_2) | instskip(NEXT) | instid1(VALU_DEP_2)
	v_xor_b32_e32 v7, v8, v4
	v_xor3_b32 v3, v5, v3, v2
                                        ; implicit-def: $vgpr5
	s_delay_alu instid0(VALU_DEP_2) | instskip(NEXT) | instid1(VALU_DEP_2)
	v_lshlrev_b32_e32 v2, 1, v7
	v_lshlrev_b32_e32 v4, 4, v3
	s_delay_alu instid0(VALU_DEP_1) | instskip(SKIP_1) | instid1(VALU_DEP_2)
	v_xor_b32_e32 v2, v2, v4
	v_xor_b32_e32 v4, 0x587c5, v6
                                        ; implicit-def: $vgpr6
	v_xor3_b32 v2, v2, v7, v3
	s_delay_alu instid0(VALU_DEP_1) | instskip(NEXT) | instid1(VALU_DEP_1)
	v_add3_u32 v2, v4, v2, 0xb0f8a
	v_cvt_f32_u32_e32 v2, v2
	s_delay_alu instid0(VALU_DEP_1) | instskip(NEXT) | instid1(VALU_DEP_1)
	v_mul_f32_e32 v2, 0x2f800000, v2
	v_mul_f32_e32 v2, 0x40c90fdb, v2
	s_delay_alu instid0(VALU_DEP_1)
	v_cmpx_ngt_f32_e32 0x48000000, v2
	s_xor_b32 s3, exec_lo, s0
	s_cbranch_execz .LBB10_3
; %bb.2:
	s_mov_b32 s0, 0x7fffff
	v_mov_b32_e32 v7, 0
	v_and_or_b32 v15, v2, s0, 0x800000
	v_lshrrev_b32_e32 v12, 23, v2
	s_delay_alu instid0(VALU_DEP_2) | instskip(NEXT) | instid1(VALU_DEP_2)
	v_mad_u64_u32 v[5:6], null, 0xfe5163ab, v15, 0
	v_add_nc_u32_e32 v13, 0xffffff88, v12
	s_delay_alu instid0(VALU_DEP_1) | instskip(NEXT) | instid1(VALU_DEP_3)
	v_cmp_lt_u32_e32 vcc_lo, 63, v13
	v_mad_u64_u32 v[8:9], null, 0x3c439041, v15, v[6:7]
	v_cndmask_b32_e64 v14, 0, 0xffffffc0, vcc_lo
	s_delay_alu instid0(VALU_DEP_2) | instskip(NEXT) | instid1(VALU_DEP_2)
	v_mov_b32_e32 v6, v9
	v_add_nc_u32_e32 v14, v14, v13
	s_delay_alu instid0(VALU_DEP_2) | instskip(NEXT) | instid1(VALU_DEP_2)
	v_mad_u64_u32 v[9:10], null, 0xdb629599, v15, v[6:7]
	v_cmp_lt_u32_e64 s0, 31, v14
	s_delay_alu instid0(VALU_DEP_1) | instskip(NEXT) | instid1(VALU_DEP_3)
	v_cndmask_b32_e64 v16, 0, 0xffffffe0, s0
	v_dual_mov_b32 v6, v10 :: v_dual_cndmask_b32 v5, v9, v5
	s_delay_alu instid0(VALU_DEP_2) | instskip(NEXT) | instid1(VALU_DEP_2)
	v_add_nc_u32_e32 v16, v16, v14
	v_mad_u64_u32 v[10:11], null, 0xf534ddc0, v15, v[6:7]
	s_delay_alu instid0(VALU_DEP_2) | instskip(NEXT) | instid1(VALU_DEP_2)
	v_cmp_lt_u32_e64 s1, 31, v16
	v_mov_b32_e32 v6, v11
	s_delay_alu instid0(VALU_DEP_3) | instskip(NEXT) | instid1(VALU_DEP_2)
	v_cndmask_b32_e32 v8, v10, v8, vcc_lo
	v_mad_u64_u32 v[11:12], null, 0xfc2757d1, v15, v[6:7]
	s_delay_alu instid0(VALU_DEP_2) | instskip(NEXT) | instid1(VALU_DEP_2)
	v_cndmask_b32_e64 v5, v8, v5, s0
	v_mov_b32_e32 v6, v12
	s_delay_alu instid0(VALU_DEP_1) | instskip(NEXT) | instid1(VALU_DEP_1)
	v_mad_u64_u32 v[12:13], null, 0x4e441529, v15, v[6:7]
	v_mov_b32_e32 v6, v13
	s_delay_alu instid0(VALU_DEP_1) | instskip(SKIP_1) | instid1(VALU_DEP_1)
	v_mad_u64_u32 v[13:14], null, 0xa2f9836e, v15, v[6:7]
	v_cndmask_b32_e64 v6, 0, 0xffffffe0, s1
	v_dual_cndmask_b32 v7, v12, v10 :: v_dual_add_nc_u32 v6, v6, v16
	s_delay_alu instid0(VALU_DEP_3) | instskip(NEXT) | instid1(VALU_DEP_4)
	v_cndmask_b32_e32 v13, v13, v11, vcc_lo
	v_dual_cndmask_b32 v11, v11, v9 :: v_dual_cndmask_b32 v12, v14, v12
	s_delay_alu instid0(VALU_DEP_3) | instskip(NEXT) | instid1(VALU_DEP_3)
	v_cmp_eq_u32_e64 s2, 0, v6
	v_cndmask_b32_e64 v10, v13, v7, s0
	s_delay_alu instid0(VALU_DEP_3) | instskip(NEXT) | instid1(VALU_DEP_4)
	v_cndmask_b32_e64 v7, v7, v11, s0
	v_cndmask_b32_e64 v12, v12, v13, s0
	v_sub_nc_u32_e32 v13, 32, v6
	v_cndmask_b32_e64 v11, v11, v8, s0
	s_delay_alu instid0(VALU_DEP_3) | instskip(SKIP_1) | instid1(VALU_DEP_3)
	v_cndmask_b32_e64 v12, v12, v10, s1
	v_cndmask_b32_e64 v10, v10, v7, s1
	;; [unrolled: 1-line block ×4, first 2 shown]
	s_delay_alu instid0(VALU_DEP_3) | instskip(NEXT) | instid1(VALU_DEP_3)
	v_alignbit_b32 v14, v12, v10, v13
	v_alignbit_b32 v15, v10, v7, v13
	s_delay_alu instid0(VALU_DEP_3) | instskip(NEXT) | instid1(VALU_DEP_3)
	v_alignbit_b32 v13, v7, v5, v13
	v_cndmask_b32_e64 v6, v14, v12, s2
	s_delay_alu instid0(VALU_DEP_3) | instskip(NEXT) | instid1(VALU_DEP_3)
	v_cndmask_b32_e64 v9, v15, v10, s2
	v_cndmask_b32_e64 v7, v13, v7, s2
	s_delay_alu instid0(VALU_DEP_3) | instskip(NEXT) | instid1(VALU_DEP_3)
	v_bfe_u32 v10, v6, 29, 1
	v_alignbit_b32 v8, v6, v9, 30
	s_delay_alu instid0(VALU_DEP_3) | instskip(SKIP_1) | instid1(VALU_DEP_4)
	v_alignbit_b32 v9, v9, v7, 30
	v_alignbit_b32 v5, v7, v5, 30
	v_sub_nc_u32_e32 v12, 0, v10
	s_delay_alu instid0(VALU_DEP_1) | instskip(SKIP_3) | instid1(VALU_DEP_4)
	v_xor_b32_e32 v11, v8, v12
	v_cmp_ne_u32_e32 vcc_lo, v8, v12
	v_xor_b32_e32 v7, v9, v12
	v_xor_b32_e32 v5, v5, v12
	v_clz_i32_u32_e32 v14, v11
	s_delay_alu instid0(VALU_DEP_1) | instskip(NEXT) | instid1(VALU_DEP_1)
	v_add_nc_u32_e32 v13, 1, v14
	v_cndmask_b32_e32 v8, 33, v13, vcc_lo
	s_delay_alu instid0(VALU_DEP_1) | instskip(NEXT) | instid1(VALU_DEP_1)
	v_sub_nc_u32_e32 v9, 32, v8
	v_alignbit_b32 v11, v11, v7, v9
	v_alignbit_b32 v5, v7, v5, v9
	v_lshrrev_b32_e32 v7, 29, v6
	v_lshrrev_b32_e32 v6, 30, v6
	s_delay_alu instid0(VALU_DEP_3) | instskip(NEXT) | instid1(VALU_DEP_3)
	v_alignbit_b32 v9, v11, v5, 9
	v_lshlrev_b32_e32 v7, 31, v7
	v_alignbit_b32 v11, v8, v11, 9
	s_delay_alu instid0(VALU_DEP_4) | instskip(NEXT) | instid1(VALU_DEP_4)
	v_add_nc_u32_e32 v6, v10, v6
	v_clz_i32_u32_e32 v12, v9
	s_delay_alu instid0(VALU_DEP_3) | instskip(SKIP_1) | instid1(VALU_DEP_3)
	v_or_b32_e32 v11, v11, v7
	v_or_b32_e32 v7, 0x33800000, v7
	v_min_u32_e32 v12, 32, v12
	s_delay_alu instid0(VALU_DEP_3) | instskip(NEXT) | instid1(VALU_DEP_2)
	v_xor_b32_e32 v11, 1.0, v11
	v_sub_nc_u32_e32 v13, 31, v12
	v_add_lshl_u32 v8, v12, v8, 23
	s_delay_alu instid0(VALU_DEP_3) | instskip(NEXT) | instid1(VALU_DEP_3)
	v_mul_f32_e32 v12, 0x3fc90fda, v11
	v_alignbit_b32 v5, v9, v5, v13
	s_delay_alu instid0(VALU_DEP_3) | instskip(NEXT) | instid1(VALU_DEP_3)
	v_sub_nc_u32_e32 v7, v7, v8
	v_fma_f32 v8, 0x3fc90fda, v11, -v12
	s_delay_alu instid0(VALU_DEP_3) | instskip(NEXT) | instid1(VALU_DEP_2)
	v_lshrrev_b32_e32 v5, 9, v5
	v_fmamk_f32 v8, v11, 0x33a22168, v8
	s_delay_alu instid0(VALU_DEP_2) | instskip(NEXT) | instid1(VALU_DEP_1)
	v_or_b32_e32 v5, v7, v5
	v_fmac_f32_e32 v8, 0x3fc90fda, v5
	s_delay_alu instid0(VALU_DEP_1)
	v_add_f32_e32 v5, v12, v8
.LBB10_3:
	s_and_not1_saveexec_b32 s0, s3
; %bb.4:
	v_mul_f32_e32 v5, 0x3f22f983, v2
	s_delay_alu instid0(VALU_DEP_1) | instskip(NEXT) | instid1(VALU_DEP_1)
	v_rndne_f32_e32 v6, v5
	v_fmamk_f32 v5, v6, 0xbfc90fda, v2
	s_delay_alu instid0(VALU_DEP_1) | instskip(NEXT) | instid1(VALU_DEP_1)
	v_fmamk_f32 v5, v6, 0xb3a22168, v5
	v_fmamk_f32 v5, v6, 0xa7c234c4, v5
	v_cvt_i32_f32_e32 v6, v6
; %bb.5:
	s_or_b32 exec_lo, exec_lo, s0
	v_add3_u32 v3, v4, v3, 0x587c5
	s_delay_alu instid0(VALU_DEP_2) | instskip(SKIP_4) | instid1(VALU_DEP_1)
	v_and_b32_e32 v13, 1, v6
	s_mov_b32 s0, 0xb94c1982
	s_mov_b32 s1, 0x37d75334
	v_lshlrev_b64 v[0:1], 2, v[0:1]
	v_cvt_f32_u32_e32 v3, v3
	v_dual_mul_f32 v3, 0x2f800000, v3 :: v_dual_lshlrev_b32 v6, 30, v6
	s_delay_alu instid0(VALU_DEP_1) | instskip(NEXT) | instid1(VALU_DEP_2)
	v_and_b32_e32 v6, 0x80000000, v6
	v_cmp_ngt_f32_e32 vcc_lo, 0x2edbe6ff, v3
	v_cndmask_b32_e32 v3, 0x2edbe6ff, v3, vcc_lo
	s_delay_alu instid0(VALU_DEP_1) | instskip(SKIP_1) | instid1(VALU_DEP_1)
	v_cmp_gt_f32_e32 vcc_lo, 0x800000, v3
	v_cndmask_b32_e64 v4, 1.0, 0x4f800000, vcc_lo
	v_mul_f32_e32 v3, v3, v4
	s_delay_alu instid0(VALU_DEP_1) | instskip(SKIP_2) | instid1(VALU_DEP_1)
	v_log_f32_e32 v3, v3
	s_waitcnt_depctr 0xfff
	v_mul_f32_e32 v4, 0x3f317217, v3
	v_fma_f32 v7, 0x3f317217, v3, -v4
	s_delay_alu instid0(VALU_DEP_1) | instskip(NEXT) | instid1(VALU_DEP_1)
	v_fmamk_f32 v7, v3, 0x3377d1cf, v7
	v_add_f32_e32 v4, v4, v7
	v_cndmask_b32_e64 v7, 0, 0x41b17218, vcc_lo
	v_cmp_gt_f32_e64 vcc_lo, 0x7f800000, |v3|
	s_delay_alu instid0(VALU_DEP_3) | instskip(NEXT) | instid1(VALU_DEP_1)
	v_cndmask_b32_e32 v3, v3, v4, vcc_lo
	v_sub_f32_e32 v3, v3, v7
	v_mul_f32_e32 v7, v5, v5
	s_delay_alu instid0(VALU_DEP_1) | instskip(NEXT) | instid1(VALU_DEP_3)
	v_fmaak_f32 v8, s0, v7, 0x3c0881c4
	v_mul_f32_e32 v3, -2.0, v3
	v_fmaak_f32 v9, s1, v7, 0xbab64f3b
	s_delay_alu instid0(VALU_DEP_3) | instskip(NEXT) | instid1(VALU_DEP_3)
	v_fmaak_f32 v8, v7, v8, 0xbe2aaa9d
	v_cmp_gt_f32_e32 vcc_lo, 0xf800000, v3
	s_delay_alu instid0(VALU_DEP_3) | instskip(NEXT) | instid1(VALU_DEP_3)
	v_fmaak_f32 v9, v7, v9, 0x3d2aabf7
	v_mul_f32_e32 v8, v7, v8
	v_mul_f32_e32 v4, 0x4f800000, v3
	s_delay_alu instid0(VALU_DEP_3) | instskip(NEXT) | instid1(VALU_DEP_3)
	v_fmaak_f32 v9, v7, v9, 0xbf000004
	v_fmac_f32_e32 v5, v5, v8
	s_delay_alu instid0(VALU_DEP_3) | instskip(NEXT) | instid1(VALU_DEP_3)
	v_cndmask_b32_e32 v3, v3, v4, vcc_lo
	v_fma_f32 v7, v7, v9, 1.0
	s_delay_alu instid0(VALU_DEP_2) | instskip(SKIP_3) | instid1(VALU_DEP_2)
	v_sqrt_f32_e32 v4, v3
	s_waitcnt_depctr 0xfff
	v_add_nc_u32_e32 v10, -1, v4
	v_add_nc_u32_e32 v11, 1, v4
	v_fma_f32 v12, -v10, v4, v3
	s_delay_alu instid0(VALU_DEP_2) | instskip(NEXT) | instid1(VALU_DEP_2)
	v_fma_f32 v14, -v11, v4, v3
	v_cmp_ge_f32_e64 s0, 0, v12
	s_delay_alu instid0(VALU_DEP_1) | instskip(NEXT) | instid1(VALU_DEP_3)
	v_cndmask_b32_e64 v4, v4, v10, s0
	v_cmp_lt_f32_e64 s0, 0, v14
	s_delay_alu instid0(VALU_DEP_1) | instskip(SKIP_1) | instid1(VALU_DEP_1)
	v_cndmask_b32_e64 v4, v4, v11, s0
	v_cmp_eq_u32_e64 s0, 0, v13
	v_cndmask_b32_e64 v5, -v5, v7, s0
	s_delay_alu instid0(VALU_DEP_3) | instskip(NEXT) | instid1(VALU_DEP_2)
	v_mul_f32_e32 v7, 0x37800000, v4
	v_xor_b32_e32 v5, v6, v5
	s_delay_alu instid0(VALU_DEP_2) | instskip(SKIP_1) | instid1(VALU_DEP_3)
	v_cndmask_b32_e32 v4, v4, v7, vcc_lo
	v_cmp_lg_f32_e32 vcc_lo, 0x7f800000, v2
	v_cndmask_b32_e32 v2, 0x7fc00000, v5, vcc_lo
	v_cmp_class_f32_e64 vcc_lo, v3, 0x260
	s_delay_alu instid0(VALU_DEP_4) | instskip(SKIP_2) | instid1(VALU_DEP_3)
	v_cndmask_b32_e32 v3, v4, v3, vcc_lo
	v_add_co_u32 v0, vcc_lo, s4, v0
	v_add_co_ci_u32_e32 v1, vcc_lo, s5, v1, vcc_lo
	v_mul_f32_e32 v2, v3, v2
	global_store_b32 v[0:1], v2, off
.LBB10_6:
	s_nop 0
	s_sendmsg sendmsg(MSG_DEALLOC_VGPRS)
	s_endpgm
	.section	.rodata,"a",@progbits
	.p2align	6, 0x0
	.amdhsa_kernel _Z11fill_kernelIfZ21hipblaslt_init_deviceIfEv8ABC_dims24hipblaslt_initializationbPT_mmmmmEUlmE9_EvS4_mmT0_
		.amdhsa_group_segment_fixed_size 0
		.amdhsa_private_segment_fixed_size 0
		.amdhsa_kernarg_size 288
		.amdhsa_user_sgpr_count 15
		.amdhsa_user_sgpr_dispatch_ptr 0
		.amdhsa_user_sgpr_queue_ptr 0
		.amdhsa_user_sgpr_kernarg_segment_ptr 1
		.amdhsa_user_sgpr_dispatch_id 0
		.amdhsa_user_sgpr_private_segment_size 0
		.amdhsa_wavefront_size32 1
		.amdhsa_uses_dynamic_stack 0
		.amdhsa_enable_private_segment 0
		.amdhsa_system_sgpr_workgroup_id_x 1
		.amdhsa_system_sgpr_workgroup_id_y 0
		.amdhsa_system_sgpr_workgroup_id_z 0
		.amdhsa_system_sgpr_workgroup_info 0
		.amdhsa_system_vgpr_workitem_id 0
		.amdhsa_next_free_vgpr 17
		.amdhsa_next_free_sgpr 16
		.amdhsa_reserve_vcc 1
		.amdhsa_float_round_mode_32 0
		.amdhsa_float_round_mode_16_64 0
		.amdhsa_float_denorm_mode_32 3
		.amdhsa_float_denorm_mode_16_64 3
		.amdhsa_dx10_clamp 1
		.amdhsa_ieee_mode 1
		.amdhsa_fp16_overflow 0
		.amdhsa_workgroup_processor_mode 1
		.amdhsa_memory_ordered 1
		.amdhsa_forward_progress 0
		.amdhsa_shared_vgpr_count 0
		.amdhsa_exception_fp_ieee_invalid_op 0
		.amdhsa_exception_fp_denorm_src 0
		.amdhsa_exception_fp_ieee_div_zero 0
		.amdhsa_exception_fp_ieee_overflow 0
		.amdhsa_exception_fp_ieee_underflow 0
		.amdhsa_exception_fp_ieee_inexact 0
		.amdhsa_exception_int_div_zero 0
	.end_amdhsa_kernel
	.section	.text._Z11fill_kernelIfZ21hipblaslt_init_deviceIfEv8ABC_dims24hipblaslt_initializationbPT_mmmmmEUlmE9_EvS4_mmT0_,"axG",@progbits,_Z11fill_kernelIfZ21hipblaslt_init_deviceIfEv8ABC_dims24hipblaslt_initializationbPT_mmmmmEUlmE9_EvS4_mmT0_,comdat
.Lfunc_end10:
	.size	_Z11fill_kernelIfZ21hipblaslt_init_deviceIfEv8ABC_dims24hipblaslt_initializationbPT_mmmmmEUlmE9_EvS4_mmT0_, .Lfunc_end10-_Z11fill_kernelIfZ21hipblaslt_init_deviceIfEv8ABC_dims24hipblaslt_initializationbPT_mmmmmEUlmE9_EvS4_mmT0_
                                        ; -- End function
	.section	.AMDGPU.csdata,"",@progbits
; Kernel info:
; codeLenInByte = 1576
; NumSgprs: 18
; NumVgprs: 17
; ScratchSize: 0
; MemoryBound: 0
; FloatMode: 240
; IeeeMode: 1
; LDSByteSize: 0 bytes/workgroup (compile time only)
; SGPRBlocks: 2
; VGPRBlocks: 2
; NumSGPRsForWavesPerEU: 18
; NumVGPRsForWavesPerEU: 17
; Occupancy: 16
; WaveLimiterHint : 0
; COMPUTE_PGM_RSRC2:SCRATCH_EN: 0
; COMPUTE_PGM_RSRC2:USER_SGPR: 15
; COMPUTE_PGM_RSRC2:TRAP_HANDLER: 0
; COMPUTE_PGM_RSRC2:TGID_X_EN: 1
; COMPUTE_PGM_RSRC2:TGID_Y_EN: 0
; COMPUTE_PGM_RSRC2:TGID_Z_EN: 0
; COMPUTE_PGM_RSRC2:TIDIG_COMP_CNT: 0
	.section	.text._Z11fill_kernelIdZ21hipblaslt_init_deviceIdEv8ABC_dims24hipblaslt_initializationbPT_mmmmmEUlmE_EvS4_mmT0_,"axG",@progbits,_Z11fill_kernelIdZ21hipblaslt_init_deviceIdEv8ABC_dims24hipblaslt_initializationbPT_mmmmmEUlmE_EvS4_mmT0_,comdat
	.protected	_Z11fill_kernelIdZ21hipblaslt_init_deviceIdEv8ABC_dims24hipblaslt_initializationbPT_mmmmmEUlmE_EvS4_mmT0_ ; -- Begin function _Z11fill_kernelIdZ21hipblaslt_init_deviceIdEv8ABC_dims24hipblaslt_initializationbPT_mmmmmEUlmE_EvS4_mmT0_
	.globl	_Z11fill_kernelIdZ21hipblaslt_init_deviceIdEv8ABC_dims24hipblaslt_initializationbPT_mmmmmEUlmE_EvS4_mmT0_
	.p2align	8
	.type	_Z11fill_kernelIdZ21hipblaslt_init_deviceIdEv8ABC_dims24hipblaslt_initializationbPT_mmmmmEUlmE_EvS4_mmT0_,@function
_Z11fill_kernelIdZ21hipblaslt_init_deviceIdEv8ABC_dims24hipblaslt_initializationbPT_mmmmmEUlmE_EvS4_mmT0_: ; @_Z11fill_kernelIdZ21hipblaslt_init_deviceIdEv8ABC_dims24hipblaslt_initializationbPT_mmmmmEUlmE_EvS4_mmT0_
; %bb.0:
	s_clause 0x1
	s_load_b32 s2, s[0:1], 0x344
	s_load_b128 s[4:7], s[0:1], 0x0
	s_waitcnt lgkmcnt(0)
	s_and_b32 s2, s2, 0xffff
	s_delay_alu instid0(SALU_CYCLE_1) | instskip(SKIP_2) | instid1(VALU_DEP_1)
	v_mad_u64_u32 v[1:2], null, s15, s2, v[0:1]
	v_mov_b32_e32 v2, 0
	s_mov_b32 s2, exec_lo
	v_cmpx_gt_u64_e64 s[6:7], v[1:2]
	s_cbranch_execz .LBB11_2
; %bb.1:
	s_load_b64 s[2:3], s[0:1], 0x10
	s_mov_b32 s6, 0x19660d
	s_waitcnt lgkmcnt(0)
	v_add_co_u32 v0, s2, v1, s2
	s_delay_alu instid0(VALU_DEP_1) | instskip(NEXT) | instid1(VALU_DEP_2)
	v_add_co_ci_u32_e64 v1, null, 0, s3, s2
	v_mad_u64_u32 v[2:3], null, v0, s6, 0x3c6ef35f
	s_delay_alu instid0(VALU_DEP_1) | instskip(SKIP_1) | instid1(VALU_DEP_1)
	v_mad_u64_u32 v[4:5], null, 0x19660d, v1, v[3:4]
	v_lshlrev_b64 v[0:1], 3, v[0:1]
	v_add_co_u32 v0, vcc_lo, s4, v0
	s_delay_alu instid0(VALU_DEP_3) | instskip(NEXT) | instid1(VALU_DEP_3)
	v_mov_b32_e32 v3, v4
	v_add_co_ci_u32_e32 v1, vcc_lo, s5, v1, vcc_lo
	s_delay_alu instid0(VALU_DEP_2) | instskip(NEXT) | instid1(VALU_DEP_1)
	v_lshlrev_b64 v[4:5], 13, v[2:3]
	v_xor_b32_e32 v3, v5, v3
	s_delay_alu instid0(VALU_DEP_2) | instskip(NEXT) | instid1(VALU_DEP_1)
	v_xor_b32_e32 v2, v4, v2
	v_lshrrev_b64 v[4:5], 17, v[2:3]
	s_delay_alu instid0(VALU_DEP_1) | instskip(NEXT) | instid1(VALU_DEP_2)
	v_xor_b32_e32 v3, v5, v3
	v_xor_b32_e32 v2, v4, v2
	s_delay_alu instid0(VALU_DEP_1) | instskip(NEXT) | instid1(VALU_DEP_1)
	v_lshlrev_b64 v[4:5], 5, v[2:3]
	v_xor_b32_e32 v3, v5, v3
	s_delay_alu instid0(VALU_DEP_2) | instskip(NEXT) | instid1(VALU_DEP_1)
	v_xor_b32_e32 v2, v4, v2
	v_lshlrev_b64 v[4:5], 13, v[2:3]
	s_delay_alu instid0(VALU_DEP_1) | instskip(NEXT) | instid1(VALU_DEP_2)
	v_xor_b32_e32 v3, v5, v3
	v_xor_b32_e32 v2, v4, v2
	s_delay_alu instid0(VALU_DEP_1) | instskip(NEXT) | instid1(VALU_DEP_1)
	v_lshrrev_b64 v[4:5], 17, v[2:3]
	v_xor_b32_e32 v3, v5, v3
	s_delay_alu instid0(VALU_DEP_2) | instskip(NEXT) | instid1(VALU_DEP_1)
	v_xor_b32_e32 v2, v4, v2
	v_lshlrev_b64 v[4:5], 5, v[2:3]
	s_delay_alu instid0(VALU_DEP_1) | instskip(NEXT) | instid1(VALU_DEP_2)
	v_xor_b32_e32 v3, v5, v3
	v_xor_b32_e32 v2, v4, v2
	s_delay_alu instid0(VALU_DEP_1) | instskip(NEXT) | instid1(VALU_DEP_1)
	v_lshlrev_b64 v[4:5], 13, v[2:3]
	v_xor_b32_e32 v3, v5, v3
	s_delay_alu instid0(VALU_DEP_2) | instskip(NEXT) | instid1(VALU_DEP_1)
	v_xor_b32_e32 v2, v4, v2
	v_alignbit_b32 v3, v3, v2, 17
	s_delay_alu instid0(VALU_DEP_1) | instskip(NEXT) | instid1(VALU_DEP_1)
	v_xor_b32_e32 v2, v3, v2
	v_lshlrev_b32_e32 v3, 5, v2
	s_delay_alu instid0(VALU_DEP_1) | instskip(NEXT) | instid1(VALU_DEP_1)
	v_xor_b32_e32 v2, v3, v2
	v_mul_hi_u32 v3, 0x51eb851f, v2
	s_delay_alu instid0(VALU_DEP_1) | instskip(NEXT) | instid1(VALU_DEP_1)
	v_lshrrev_b32_e32 v3, 5, v3
	v_mul_lo_u32 v3, 0x64, v3
	s_delay_alu instid0(VALU_DEP_1) | instskip(NEXT) | instid1(VALU_DEP_1)
	v_sub_nc_u32_e32 v2, v2, v3
	v_lshlrev_b32_e32 v2, 3, v2
	global_load_b64 v[2:3], v2, s[0:1] offset:24
	s_waitcnt vmcnt(0)
	global_store_b64 v[0:1], v[2:3], off
.LBB11_2:
	s_nop 0
	s_sendmsg sendmsg(MSG_DEALLOC_VGPRS)
	s_endpgm
	.section	.rodata,"a",@progbits
	.p2align	6, 0x0
	.amdhsa_kernel _Z11fill_kernelIdZ21hipblaslt_init_deviceIdEv8ABC_dims24hipblaslt_initializationbPT_mmmmmEUlmE_EvS4_mmT0_
		.amdhsa_group_segment_fixed_size 0
		.amdhsa_private_segment_fixed_size 0
		.amdhsa_kernarg_size 1080
		.amdhsa_user_sgpr_count 15
		.amdhsa_user_sgpr_dispatch_ptr 0
		.amdhsa_user_sgpr_queue_ptr 0
		.amdhsa_user_sgpr_kernarg_segment_ptr 1
		.amdhsa_user_sgpr_dispatch_id 0
		.amdhsa_user_sgpr_private_segment_size 0
		.amdhsa_wavefront_size32 1
		.amdhsa_uses_dynamic_stack 0
		.amdhsa_enable_private_segment 0
		.amdhsa_system_sgpr_workgroup_id_x 1
		.amdhsa_system_sgpr_workgroup_id_y 0
		.amdhsa_system_sgpr_workgroup_id_z 0
		.amdhsa_system_sgpr_workgroup_info 0
		.amdhsa_system_vgpr_workitem_id 0
		.amdhsa_next_free_vgpr 6
		.amdhsa_next_free_sgpr 16
		.amdhsa_reserve_vcc 1
		.amdhsa_float_round_mode_32 0
		.amdhsa_float_round_mode_16_64 0
		.amdhsa_float_denorm_mode_32 3
		.amdhsa_float_denorm_mode_16_64 3
		.amdhsa_dx10_clamp 1
		.amdhsa_ieee_mode 1
		.amdhsa_fp16_overflow 0
		.amdhsa_workgroup_processor_mode 1
		.amdhsa_memory_ordered 1
		.amdhsa_forward_progress 0
		.amdhsa_shared_vgpr_count 0
		.amdhsa_exception_fp_ieee_invalid_op 0
		.amdhsa_exception_fp_denorm_src 0
		.amdhsa_exception_fp_ieee_div_zero 0
		.amdhsa_exception_fp_ieee_overflow 0
		.amdhsa_exception_fp_ieee_underflow 0
		.amdhsa_exception_fp_ieee_inexact 0
		.amdhsa_exception_int_div_zero 0
	.end_amdhsa_kernel
	.section	.text._Z11fill_kernelIdZ21hipblaslt_init_deviceIdEv8ABC_dims24hipblaslt_initializationbPT_mmmmmEUlmE_EvS4_mmT0_,"axG",@progbits,_Z11fill_kernelIdZ21hipblaslt_init_deviceIdEv8ABC_dims24hipblaslt_initializationbPT_mmmmmEUlmE_EvS4_mmT0_,comdat
.Lfunc_end11:
	.size	_Z11fill_kernelIdZ21hipblaslt_init_deviceIdEv8ABC_dims24hipblaslt_initializationbPT_mmmmmEUlmE_EvS4_mmT0_, .Lfunc_end11-_Z11fill_kernelIdZ21hipblaslt_init_deviceIdEv8ABC_dims24hipblaslt_initializationbPT_mmmmmEUlmE_EvS4_mmT0_
                                        ; -- End function
	.section	.AMDGPU.csdata,"",@progbits
; Kernel info:
; codeLenInByte = 420
; NumSgprs: 18
; NumVgprs: 6
; ScratchSize: 0
; MemoryBound: 0
; FloatMode: 240
; IeeeMode: 1
; LDSByteSize: 0 bytes/workgroup (compile time only)
; SGPRBlocks: 2
; VGPRBlocks: 0
; NumSGPRsForWavesPerEU: 18
; NumVGPRsForWavesPerEU: 6
; Occupancy: 16
; WaveLimiterHint : 0
; COMPUTE_PGM_RSRC2:SCRATCH_EN: 0
; COMPUTE_PGM_RSRC2:USER_SGPR: 15
; COMPUTE_PGM_RSRC2:TRAP_HANDLER: 0
; COMPUTE_PGM_RSRC2:TGID_X_EN: 1
; COMPUTE_PGM_RSRC2:TGID_Y_EN: 0
; COMPUTE_PGM_RSRC2:TGID_Z_EN: 0
; COMPUTE_PGM_RSRC2:TIDIG_COMP_CNT: 0
	.section	.text._Z11fill_kernelIdZ21hipblaslt_init_deviceIdEv8ABC_dims24hipblaslt_initializationbPT_mmmmmEUlmE0_EvS4_mmT0_,"axG",@progbits,_Z11fill_kernelIdZ21hipblaslt_init_deviceIdEv8ABC_dims24hipblaslt_initializationbPT_mmmmmEUlmE0_EvS4_mmT0_,comdat
	.protected	_Z11fill_kernelIdZ21hipblaslt_init_deviceIdEv8ABC_dims24hipblaslt_initializationbPT_mmmmmEUlmE0_EvS4_mmT0_ ; -- Begin function _Z11fill_kernelIdZ21hipblaslt_init_deviceIdEv8ABC_dims24hipblaslt_initializationbPT_mmmmmEUlmE0_EvS4_mmT0_
	.globl	_Z11fill_kernelIdZ21hipblaslt_init_deviceIdEv8ABC_dims24hipblaslt_initializationbPT_mmmmmEUlmE0_EvS4_mmT0_
	.p2align	8
	.type	_Z11fill_kernelIdZ21hipblaslt_init_deviceIdEv8ABC_dims24hipblaslt_initializationbPT_mmmmmEUlmE0_EvS4_mmT0_,@function
_Z11fill_kernelIdZ21hipblaslt_init_deviceIdEv8ABC_dims24hipblaslt_initializationbPT_mmmmmEUlmE0_EvS4_mmT0_: ; @_Z11fill_kernelIdZ21hipblaslt_init_deviceIdEv8ABC_dims24hipblaslt_initializationbPT_mmmmmEUlmE0_EvS4_mmT0_
; %bb.0:
	s_clause 0x1
	s_load_b32 s2, s[0:1], 0x2c
	s_load_b128 s[4:7], s[0:1], 0x0
	s_waitcnt lgkmcnt(0)
	s_and_b32 s2, s2, 0xffff
	s_delay_alu instid0(SALU_CYCLE_1) | instskip(SKIP_2) | instid1(VALU_DEP_1)
	v_mad_u64_u32 v[1:2], null, s15, s2, v[0:1]
	v_mov_b32_e32 v2, 0
	s_mov_b32 s2, exec_lo
	v_cmpx_gt_u64_e64 s[6:7], v[1:2]
	s_cbranch_execz .LBB12_2
; %bb.1:
	s_load_b64 s[0:1], s[0:1], 0x10
	s_mov_b32 s2, 0x19660d
	s_waitcnt lgkmcnt(0)
	v_add_co_u32 v0, s0, v1, s0
	s_delay_alu instid0(VALU_DEP_1) | instskip(NEXT) | instid1(VALU_DEP_2)
	v_add_co_ci_u32_e64 v1, null, 0, s1, s0
	v_mad_u64_u32 v[2:3], null, v0, s2, 0x3c6ef35f
	s_delay_alu instid0(VALU_DEP_1) | instskip(SKIP_1) | instid1(VALU_DEP_1)
	v_mad_u64_u32 v[4:5], null, 0x19660d, v1, v[3:4]
	v_lshlrev_b64 v[0:1], 3, v[0:1]
	v_add_co_u32 v0, vcc_lo, s4, v0
	s_delay_alu instid0(VALU_DEP_3) | instskip(NEXT) | instid1(VALU_DEP_3)
	v_mov_b32_e32 v3, v4
	v_add_co_ci_u32_e32 v1, vcc_lo, s5, v1, vcc_lo
	s_delay_alu instid0(VALU_DEP_2) | instskip(NEXT) | instid1(VALU_DEP_1)
	v_lshlrev_b64 v[4:5], 13, v[2:3]
	v_xor_b32_e32 v3, v5, v3
	s_delay_alu instid0(VALU_DEP_2) | instskip(NEXT) | instid1(VALU_DEP_1)
	v_xor_b32_e32 v2, v4, v2
	v_lshrrev_b64 v[4:5], 17, v[2:3]
	s_delay_alu instid0(VALU_DEP_1) | instskip(NEXT) | instid1(VALU_DEP_2)
	v_xor_b32_e32 v3, v5, v3
	v_xor_b32_e32 v2, v4, v2
	s_delay_alu instid0(VALU_DEP_1) | instskip(NEXT) | instid1(VALU_DEP_1)
	v_lshlrev_b64 v[4:5], 5, v[2:3]
	v_xor_b32_e32 v3, v5, v3
	s_delay_alu instid0(VALU_DEP_2) | instskip(NEXT) | instid1(VALU_DEP_1)
	v_xor_b32_e32 v2, v4, v2
	v_lshlrev_b64 v[4:5], 13, v[2:3]
	s_delay_alu instid0(VALU_DEP_1) | instskip(NEXT) | instid1(VALU_DEP_2)
	v_xor_b32_e32 v3, v5, v3
	v_xor_b32_e32 v2, v4, v2
	s_delay_alu instid0(VALU_DEP_1) | instskip(NEXT) | instid1(VALU_DEP_1)
	v_lshrrev_b64 v[4:5], 17, v[2:3]
	v_xor_b32_e32 v3, v5, v3
	s_delay_alu instid0(VALU_DEP_2) | instskip(NEXT) | instid1(VALU_DEP_1)
	v_xor_b32_e32 v2, v4, v2
	v_lshlrev_b64 v[4:5], 5, v[2:3]
	s_delay_alu instid0(VALU_DEP_1) | instskip(NEXT) | instid1(VALU_DEP_2)
	v_xor_b32_e32 v3, v5, v3
	v_xor_b32_e32 v2, v4, v2
	s_delay_alu instid0(VALU_DEP_1) | instskip(NEXT) | instid1(VALU_DEP_1)
	v_lshlrev_b64 v[4:5], 13, v[2:3]
	v_xor_b32_e32 v3, v5, v3
	s_delay_alu instid0(VALU_DEP_2) | instskip(NEXT) | instid1(VALU_DEP_1)
	v_xor_b32_e32 v2, v4, v2
	v_alignbit_b32 v3, v3, v2, 17
	s_delay_alu instid0(VALU_DEP_1) | instskip(NEXT) | instid1(VALU_DEP_1)
	v_xor_b32_e32 v2, v3, v2
	v_lshlrev_b32_e32 v3, 5, v2
	s_delay_alu instid0(VALU_DEP_1) | instskip(NEXT) | instid1(VALU_DEP_1)
	v_xor_b32_e32 v2, v3, v2
	v_mul_hi_u32 v3, 0xcccccccd, v2
	s_delay_alu instid0(VALU_DEP_1) | instskip(NEXT) | instid1(VALU_DEP_1)
	v_lshrrev_b32_e32 v3, 3, v3
	v_mul_lo_u32 v3, v3, 10
	s_delay_alu instid0(VALU_DEP_1) | instskip(NEXT) | instid1(VALU_DEP_1)
	v_sub_nc_u32_e32 v2, v2, v3
	v_add_nc_u32_e32 v2, 1, v2
	s_delay_alu instid0(VALU_DEP_1)
	v_cvt_f64_u32_e32 v[2:3], v2
	global_store_b64 v[0:1], v[2:3], off
.LBB12_2:
	s_nop 0
	s_sendmsg sendmsg(MSG_DEALLOC_VGPRS)
	s_endpgm
	.section	.rodata,"a",@progbits
	.p2align	6, 0x0
	.amdhsa_kernel _Z11fill_kernelIdZ21hipblaslt_init_deviceIdEv8ABC_dims24hipblaslt_initializationbPT_mmmmmEUlmE0_EvS4_mmT0_
		.amdhsa_group_segment_fixed_size 0
		.amdhsa_private_segment_fixed_size 0
		.amdhsa_kernarg_size 288
		.amdhsa_user_sgpr_count 15
		.amdhsa_user_sgpr_dispatch_ptr 0
		.amdhsa_user_sgpr_queue_ptr 0
		.amdhsa_user_sgpr_kernarg_segment_ptr 1
		.amdhsa_user_sgpr_dispatch_id 0
		.amdhsa_user_sgpr_private_segment_size 0
		.amdhsa_wavefront_size32 1
		.amdhsa_uses_dynamic_stack 0
		.amdhsa_enable_private_segment 0
		.amdhsa_system_sgpr_workgroup_id_x 1
		.amdhsa_system_sgpr_workgroup_id_y 0
		.amdhsa_system_sgpr_workgroup_id_z 0
		.amdhsa_system_sgpr_workgroup_info 0
		.amdhsa_system_vgpr_workitem_id 0
		.amdhsa_next_free_vgpr 6
		.amdhsa_next_free_sgpr 16
		.amdhsa_reserve_vcc 1
		.amdhsa_float_round_mode_32 0
		.amdhsa_float_round_mode_16_64 0
		.amdhsa_float_denorm_mode_32 3
		.amdhsa_float_denorm_mode_16_64 3
		.amdhsa_dx10_clamp 1
		.amdhsa_ieee_mode 1
		.amdhsa_fp16_overflow 0
		.amdhsa_workgroup_processor_mode 1
		.amdhsa_memory_ordered 1
		.amdhsa_forward_progress 0
		.amdhsa_shared_vgpr_count 0
		.amdhsa_exception_fp_ieee_invalid_op 0
		.amdhsa_exception_fp_denorm_src 0
		.amdhsa_exception_fp_ieee_div_zero 0
		.amdhsa_exception_fp_ieee_overflow 0
		.amdhsa_exception_fp_ieee_underflow 0
		.amdhsa_exception_fp_ieee_inexact 0
		.amdhsa_exception_int_div_zero 0
	.end_amdhsa_kernel
	.section	.text._Z11fill_kernelIdZ21hipblaslt_init_deviceIdEv8ABC_dims24hipblaslt_initializationbPT_mmmmmEUlmE0_EvS4_mmT0_,"axG",@progbits,_Z11fill_kernelIdZ21hipblaslt_init_deviceIdEv8ABC_dims24hipblaslt_initializationbPT_mmmmmEUlmE0_EvS4_mmT0_,comdat
.Lfunc_end12:
	.size	_Z11fill_kernelIdZ21hipblaslt_init_deviceIdEv8ABC_dims24hipblaslt_initializationbPT_mmmmmEUlmE0_EvS4_mmT0_, .Lfunc_end12-_Z11fill_kernelIdZ21hipblaslt_init_deviceIdEv8ABC_dims24hipblaslt_initializationbPT_mmmmmEUlmE0_EvS4_mmT0_
                                        ; -- End function
	.section	.AMDGPU.csdata,"",@progbits
; Kernel info:
; codeLenInByte = 412
; NumSgprs: 18
; NumVgprs: 6
; ScratchSize: 0
; MemoryBound: 0
; FloatMode: 240
; IeeeMode: 1
; LDSByteSize: 0 bytes/workgroup (compile time only)
; SGPRBlocks: 2
; VGPRBlocks: 0
; NumSGPRsForWavesPerEU: 18
; NumVGPRsForWavesPerEU: 6
; Occupancy: 16
; WaveLimiterHint : 0
; COMPUTE_PGM_RSRC2:SCRATCH_EN: 0
; COMPUTE_PGM_RSRC2:USER_SGPR: 15
; COMPUTE_PGM_RSRC2:TRAP_HANDLER: 0
; COMPUTE_PGM_RSRC2:TGID_X_EN: 1
; COMPUTE_PGM_RSRC2:TGID_Y_EN: 0
; COMPUTE_PGM_RSRC2:TGID_Z_EN: 0
; COMPUTE_PGM_RSRC2:TIDIG_COMP_CNT: 0
	.section	.text._Z11fill_kernelIdZ21hipblaslt_init_deviceIdEv8ABC_dims24hipblaslt_initializationbPT_mmmmmEUlmE1_EvS4_mmT0_,"axG",@progbits,_Z11fill_kernelIdZ21hipblaslt_init_deviceIdEv8ABC_dims24hipblaslt_initializationbPT_mmmmmEUlmE1_EvS4_mmT0_,comdat
	.protected	_Z11fill_kernelIdZ21hipblaslt_init_deviceIdEv8ABC_dims24hipblaslt_initializationbPT_mmmmmEUlmE1_EvS4_mmT0_ ; -- Begin function _Z11fill_kernelIdZ21hipblaslt_init_deviceIdEv8ABC_dims24hipblaslt_initializationbPT_mmmmmEUlmE1_EvS4_mmT0_
	.globl	_Z11fill_kernelIdZ21hipblaslt_init_deviceIdEv8ABC_dims24hipblaslt_initializationbPT_mmmmmEUlmE1_EvS4_mmT0_
	.p2align	8
	.type	_Z11fill_kernelIdZ21hipblaslt_init_deviceIdEv8ABC_dims24hipblaslt_initializationbPT_mmmmmEUlmE1_EvS4_mmT0_,@function
_Z11fill_kernelIdZ21hipblaslt_init_deviceIdEv8ABC_dims24hipblaslt_initializationbPT_mmmmmEUlmE1_EvS4_mmT0_: ; @_Z11fill_kernelIdZ21hipblaslt_init_deviceIdEv8ABC_dims24hipblaslt_initializationbPT_mmmmmEUlmE1_EvS4_mmT0_
; %bb.0:
	s_clause 0x1
	s_load_b32 s2, s[0:1], 0x34
	s_load_b128 s[4:7], s[0:1], 0x0
	s_waitcnt lgkmcnt(0)
	s_and_b32 s2, s2, 0xffff
	s_delay_alu instid0(SALU_CYCLE_1) | instskip(SKIP_2) | instid1(VALU_DEP_1)
	v_mad_u64_u32 v[1:2], null, s15, s2, v[0:1]
	v_mov_b32_e32 v2, 0
	s_mov_b32 s2, exec_lo
	v_cmpx_gt_u64_e64 s[6:7], v[1:2]
	s_cbranch_execz .LBB13_10
; %bb.1:
	s_clause 0x1
	s_load_b64 s[2:3], s[0:1], 0x10
	s_load_b128 s[8:11], s[0:1], 0x18
	s_waitcnt lgkmcnt(0)
	v_add_co_u32 v0, s0, v1, s2
	s_delay_alu instid0(VALU_DEP_1) | instskip(NEXT) | instid1(VALU_DEP_1)
	v_add_co_ci_u32_e64 v1, null, 0, s3, s0
	v_or_b32_e32 v3, s9, v1
	s_delay_alu instid0(VALU_DEP_1) | instskip(SKIP_1) | instid1(SALU_CYCLE_1)
	v_cmp_ne_u64_e32 vcc_lo, 0, v[2:3]
                                        ; implicit-def: $vgpr2_vgpr3
	s_and_saveexec_b32 s0, vcc_lo
	s_xor_b32 s1, exec_lo, s0
	s_cbranch_execz .LBB13_3
; %bb.2:
	v_cvt_f32_u32_e32 v2, s8
	v_cvt_f32_u32_e32 v3, s9
	s_sub_u32 s0, 0, s8
	s_subb_u32 s2, 0, s9
	s_delay_alu instid0(VALU_DEP_1) | instskip(NEXT) | instid1(VALU_DEP_1)
	v_fmamk_f32 v2, v3, 0x4f800000, v2
	v_rcp_f32_e32 v2, v2
	s_waitcnt_depctr 0xfff
	v_mul_f32_e32 v2, 0x5f7ffffc, v2
	s_delay_alu instid0(VALU_DEP_1) | instskip(NEXT) | instid1(VALU_DEP_1)
	v_mul_f32_e32 v3, 0x2f800000, v2
	v_trunc_f32_e32 v3, v3
	s_delay_alu instid0(VALU_DEP_1) | instskip(SKIP_1) | instid1(VALU_DEP_2)
	v_fmamk_f32 v2, v3, 0xcf800000, v2
	v_cvt_u32_f32_e32 v3, v3
	v_cvt_u32_f32_e32 v2, v2
	s_delay_alu instid0(VALU_DEP_2) | instskip(NEXT) | instid1(VALU_DEP_2)
	v_mul_lo_u32 v4, s0, v3
	v_mul_hi_u32 v5, s0, v2
	v_mul_lo_u32 v6, s2, v2
	s_delay_alu instid0(VALU_DEP_2) | instskip(SKIP_1) | instid1(VALU_DEP_2)
	v_add_nc_u32_e32 v4, v5, v4
	v_mul_lo_u32 v5, s0, v2
	v_add_nc_u32_e32 v4, v4, v6
	s_delay_alu instid0(VALU_DEP_2) | instskip(NEXT) | instid1(VALU_DEP_2)
	v_mul_hi_u32 v6, v2, v5
	v_mul_lo_u32 v7, v2, v4
	v_mul_hi_u32 v8, v2, v4
	v_mul_hi_u32 v9, v3, v5
	v_mul_lo_u32 v5, v3, v5
	v_mul_hi_u32 v10, v3, v4
	v_mul_lo_u32 v4, v3, v4
	v_add_co_u32 v6, vcc_lo, v6, v7
	v_add_co_ci_u32_e32 v7, vcc_lo, 0, v8, vcc_lo
	s_delay_alu instid0(VALU_DEP_2) | instskip(NEXT) | instid1(VALU_DEP_2)
	v_add_co_u32 v5, vcc_lo, v6, v5
	v_add_co_ci_u32_e32 v5, vcc_lo, v7, v9, vcc_lo
	v_add_co_ci_u32_e32 v6, vcc_lo, 0, v10, vcc_lo
	s_delay_alu instid0(VALU_DEP_2) | instskip(NEXT) | instid1(VALU_DEP_2)
	v_add_co_u32 v4, vcc_lo, v5, v4
	v_add_co_ci_u32_e32 v5, vcc_lo, 0, v6, vcc_lo
	s_delay_alu instid0(VALU_DEP_2) | instskip(NEXT) | instid1(VALU_DEP_2)
	v_add_co_u32 v2, vcc_lo, v2, v4
	v_add_co_ci_u32_e32 v3, vcc_lo, v3, v5, vcc_lo
	s_delay_alu instid0(VALU_DEP_2) | instskip(SKIP_1) | instid1(VALU_DEP_3)
	v_mul_hi_u32 v4, s0, v2
	v_mul_lo_u32 v6, s2, v2
	v_mul_lo_u32 v5, s0, v3
	s_delay_alu instid0(VALU_DEP_1) | instskip(SKIP_1) | instid1(VALU_DEP_2)
	v_add_nc_u32_e32 v4, v4, v5
	v_mul_lo_u32 v5, s0, v2
	v_add_nc_u32_e32 v4, v4, v6
	s_delay_alu instid0(VALU_DEP_2) | instskip(NEXT) | instid1(VALU_DEP_2)
	v_mul_hi_u32 v6, v2, v5
	v_mul_lo_u32 v7, v2, v4
	v_mul_hi_u32 v8, v2, v4
	v_mul_hi_u32 v9, v3, v5
	v_mul_lo_u32 v5, v3, v5
	v_mul_hi_u32 v10, v3, v4
	v_mul_lo_u32 v4, v3, v4
	v_add_co_u32 v6, vcc_lo, v6, v7
	v_add_co_ci_u32_e32 v7, vcc_lo, 0, v8, vcc_lo
	s_delay_alu instid0(VALU_DEP_2) | instskip(NEXT) | instid1(VALU_DEP_2)
	v_add_co_u32 v5, vcc_lo, v6, v5
	v_add_co_ci_u32_e32 v5, vcc_lo, v7, v9, vcc_lo
	v_add_co_ci_u32_e32 v6, vcc_lo, 0, v10, vcc_lo
	s_delay_alu instid0(VALU_DEP_2) | instskip(NEXT) | instid1(VALU_DEP_2)
	v_add_co_u32 v4, vcc_lo, v5, v4
	v_add_co_ci_u32_e32 v5, vcc_lo, 0, v6, vcc_lo
	s_delay_alu instid0(VALU_DEP_2) | instskip(NEXT) | instid1(VALU_DEP_2)
	v_add_co_u32 v6, vcc_lo, v2, v4
	v_add_co_ci_u32_e32 v8, vcc_lo, v3, v5, vcc_lo
	s_delay_alu instid0(VALU_DEP_2) | instskip(SKIP_1) | instid1(VALU_DEP_3)
	v_mul_hi_u32 v9, v0, v6
	v_mad_u64_u32 v[4:5], null, v1, v6, 0
	v_mad_u64_u32 v[2:3], null, v0, v8, 0
	;; [unrolled: 1-line block ×3, first 2 shown]
	s_delay_alu instid0(VALU_DEP_2) | instskip(NEXT) | instid1(VALU_DEP_3)
	v_add_co_u32 v2, vcc_lo, v9, v2
	v_add_co_ci_u32_e32 v3, vcc_lo, 0, v3, vcc_lo
	s_delay_alu instid0(VALU_DEP_2) | instskip(NEXT) | instid1(VALU_DEP_2)
	v_add_co_u32 v2, vcc_lo, v2, v4
	v_add_co_ci_u32_e32 v2, vcc_lo, v3, v5, vcc_lo
	v_add_co_ci_u32_e32 v3, vcc_lo, 0, v7, vcc_lo
	s_delay_alu instid0(VALU_DEP_2) | instskip(NEXT) | instid1(VALU_DEP_2)
	v_add_co_u32 v4, vcc_lo, v2, v6
	v_add_co_ci_u32_e32 v5, vcc_lo, 0, v3, vcc_lo
	s_delay_alu instid0(VALU_DEP_2) | instskip(SKIP_1) | instid1(VALU_DEP_3)
	v_mul_lo_u32 v6, s9, v4
	v_mad_u64_u32 v[2:3], null, s8, v4, 0
	v_mul_lo_u32 v4, s8, v5
	s_delay_alu instid0(VALU_DEP_2) | instskip(NEXT) | instid1(VALU_DEP_2)
	v_sub_co_u32 v2, vcc_lo, v0, v2
	v_add3_u32 v3, v3, v4, v6
	s_delay_alu instid0(VALU_DEP_1) | instskip(NEXT) | instid1(VALU_DEP_1)
	v_sub_nc_u32_e32 v4, v1, v3
	v_subrev_co_ci_u32_e64 v4, s0, s9, v4, vcc_lo
	v_sub_co_ci_u32_e32 v3, vcc_lo, v1, v3, vcc_lo
	v_sub_co_u32 v5, vcc_lo, v2, s8
	s_delay_alu instid0(VALU_DEP_1) | instskip(SKIP_3) | instid1(VALU_DEP_3)
	v_subrev_co_ci_u32_e64 v6, s0, 0, v4, vcc_lo
	v_cmp_le_u32_e64 s0, s8, v2
	v_subrev_co_ci_u32_e32 v4, vcc_lo, s9, v4, vcc_lo
	v_cmp_le_u32_e32 vcc_lo, s9, v3
	v_cndmask_b32_e64 v7, 0, -1, s0
	v_cmp_le_u32_e64 s0, s8, v5
	v_cndmask_b32_e64 v10, 0, -1, vcc_lo
	v_cmp_eq_u32_e32 vcc_lo, s9, v6
	s_delay_alu instid0(VALU_DEP_3) | instskip(SKIP_1) | instid1(VALU_DEP_1)
	v_cndmask_b32_e64 v8, 0, -1, s0
	v_cmp_le_u32_e64 s0, s9, v6
	v_cndmask_b32_e64 v9, 0, -1, s0
	v_cmp_eq_u32_e64 s0, s9, v3
	s_delay_alu instid0(VALU_DEP_2) | instskip(SKIP_2) | instid1(VALU_DEP_3)
	v_cndmask_b32_e32 v8, v9, v8, vcc_lo
	v_sub_co_u32 v9, vcc_lo, v5, s8
	v_subrev_co_ci_u32_e32 v4, vcc_lo, 0, v4, vcc_lo
	v_cmp_ne_u32_e32 vcc_lo, 0, v8
	v_cndmask_b32_e64 v7, v10, v7, s0
	s_delay_alu instid0(VALU_DEP_3) | instskip(NEXT) | instid1(VALU_DEP_2)
	v_dual_cndmask_b32 v4, v6, v4 :: v_dual_cndmask_b32 v5, v5, v9
	v_cmp_ne_u32_e32 vcc_lo, 0, v7
	s_delay_alu instid0(VALU_DEP_2)
	v_dual_cndmask_b32 v3, v3, v4 :: v_dual_cndmask_b32 v2, v2, v5
.LBB13_3:
	s_and_not1_saveexec_b32 s0, s1
	s_cbranch_execz .LBB13_5
; %bb.4:
	v_cvt_f32_u32_e32 v2, s8
	s_sub_i32 s1, 0, s8
	s_delay_alu instid0(VALU_DEP_1) | instskip(SKIP_2) | instid1(VALU_DEP_1)
	v_rcp_iflag_f32_e32 v2, v2
	s_waitcnt_depctr 0xfff
	v_mul_f32_e32 v2, 0x4f7ffffe, v2
	v_cvt_u32_f32_e32 v2, v2
	s_delay_alu instid0(VALU_DEP_1) | instskip(NEXT) | instid1(VALU_DEP_1)
	v_mul_lo_u32 v3, s1, v2
	v_mul_hi_u32 v3, v2, v3
	s_delay_alu instid0(VALU_DEP_1) | instskip(NEXT) | instid1(VALU_DEP_1)
	v_add_nc_u32_e32 v2, v2, v3
	v_mul_hi_u32 v2, v0, v2
	s_delay_alu instid0(VALU_DEP_1) | instskip(NEXT) | instid1(VALU_DEP_1)
	v_mul_lo_u32 v2, v2, s8
	v_sub_nc_u32_e32 v2, v0, v2
	s_delay_alu instid0(VALU_DEP_1) | instskip(SKIP_1) | instid1(VALU_DEP_2)
	v_subrev_nc_u32_e32 v3, s8, v2
	v_cmp_le_u32_e32 vcc_lo, s8, v2
	v_cndmask_b32_e32 v2, v2, v3, vcc_lo
	s_delay_alu instid0(VALU_DEP_1) | instskip(SKIP_1) | instid1(VALU_DEP_2)
	v_subrev_nc_u32_e32 v3, s8, v2
	v_cmp_le_u32_e32 vcc_lo, s8, v2
	v_dual_cndmask_b32 v2, v2, v3 :: v_dual_mov_b32 v3, 0
.LBB13_5:
	s_or_b32 exec_lo, exec_lo, s0
	s_delay_alu instid0(VALU_DEP_1) | instskip(SKIP_1) | instid1(VALU_DEP_1)
	v_or_b32_e32 v5, s11, v3
	v_mov_b32_e32 v4, 0
	v_cmp_ne_u64_e32 vcc_lo, 0, v[4:5]
                                        ; implicit-def: $vgpr4_vgpr5
	s_and_saveexec_b32 s0, vcc_lo
	s_delay_alu instid0(SALU_CYCLE_1)
	s_xor_b32 s1, exec_lo, s0
	s_cbranch_execz .LBB13_7
; %bb.6:
	v_cvt_f32_u32_e32 v4, s10
	v_cvt_f32_u32_e32 v5, s11
	s_sub_u32 s0, 0, s10
	s_subb_u32 s2, 0, s11
	s_delay_alu instid0(VALU_DEP_1) | instskip(NEXT) | instid1(VALU_DEP_1)
	v_fmamk_f32 v4, v5, 0x4f800000, v4
	v_rcp_f32_e32 v4, v4
	s_waitcnt_depctr 0xfff
	v_mul_f32_e32 v4, 0x5f7ffffc, v4
	s_delay_alu instid0(VALU_DEP_1) | instskip(NEXT) | instid1(VALU_DEP_1)
	v_mul_f32_e32 v5, 0x2f800000, v4
	v_trunc_f32_e32 v5, v5
	s_delay_alu instid0(VALU_DEP_1) | instskip(SKIP_1) | instid1(VALU_DEP_2)
	v_fmamk_f32 v4, v5, 0xcf800000, v4
	v_cvt_u32_f32_e32 v5, v5
	v_cvt_u32_f32_e32 v4, v4
	s_delay_alu instid0(VALU_DEP_2) | instskip(NEXT) | instid1(VALU_DEP_2)
	v_mul_lo_u32 v6, s0, v5
	v_mul_hi_u32 v7, s0, v4
	v_mul_lo_u32 v8, s2, v4
	s_delay_alu instid0(VALU_DEP_2) | instskip(SKIP_1) | instid1(VALU_DEP_2)
	v_add_nc_u32_e32 v6, v7, v6
	v_mul_lo_u32 v7, s0, v4
	v_add_nc_u32_e32 v6, v6, v8
	s_delay_alu instid0(VALU_DEP_2) | instskip(NEXT) | instid1(VALU_DEP_2)
	v_mul_hi_u32 v8, v4, v7
	v_mul_lo_u32 v9, v4, v6
	v_mul_hi_u32 v10, v4, v6
	v_mul_hi_u32 v11, v5, v7
	v_mul_lo_u32 v7, v5, v7
	v_mul_hi_u32 v12, v5, v6
	v_mul_lo_u32 v6, v5, v6
	v_add_co_u32 v8, vcc_lo, v8, v9
	v_add_co_ci_u32_e32 v9, vcc_lo, 0, v10, vcc_lo
	s_delay_alu instid0(VALU_DEP_2) | instskip(NEXT) | instid1(VALU_DEP_2)
	v_add_co_u32 v7, vcc_lo, v8, v7
	v_add_co_ci_u32_e32 v7, vcc_lo, v9, v11, vcc_lo
	v_add_co_ci_u32_e32 v8, vcc_lo, 0, v12, vcc_lo
	s_delay_alu instid0(VALU_DEP_2) | instskip(NEXT) | instid1(VALU_DEP_2)
	v_add_co_u32 v6, vcc_lo, v7, v6
	v_add_co_ci_u32_e32 v7, vcc_lo, 0, v8, vcc_lo
	s_delay_alu instid0(VALU_DEP_2) | instskip(NEXT) | instid1(VALU_DEP_2)
	v_add_co_u32 v4, vcc_lo, v4, v6
	v_add_co_ci_u32_e32 v5, vcc_lo, v5, v7, vcc_lo
	s_delay_alu instid0(VALU_DEP_2) | instskip(SKIP_1) | instid1(VALU_DEP_3)
	v_mul_hi_u32 v6, s0, v4
	v_mul_lo_u32 v8, s2, v4
	v_mul_lo_u32 v7, s0, v5
	s_delay_alu instid0(VALU_DEP_1) | instskip(SKIP_1) | instid1(VALU_DEP_2)
	v_add_nc_u32_e32 v6, v6, v7
	v_mul_lo_u32 v7, s0, v4
	v_add_nc_u32_e32 v6, v6, v8
	s_delay_alu instid0(VALU_DEP_2) | instskip(NEXT) | instid1(VALU_DEP_2)
	v_mul_hi_u32 v8, v4, v7
	v_mul_lo_u32 v9, v4, v6
	v_mul_hi_u32 v10, v4, v6
	v_mul_hi_u32 v11, v5, v7
	v_mul_lo_u32 v7, v5, v7
	v_mul_hi_u32 v12, v5, v6
	v_mul_lo_u32 v6, v5, v6
	v_add_co_u32 v8, vcc_lo, v8, v9
	v_add_co_ci_u32_e32 v9, vcc_lo, 0, v10, vcc_lo
	s_delay_alu instid0(VALU_DEP_2) | instskip(NEXT) | instid1(VALU_DEP_2)
	v_add_co_u32 v7, vcc_lo, v8, v7
	v_add_co_ci_u32_e32 v7, vcc_lo, v9, v11, vcc_lo
	v_add_co_ci_u32_e32 v8, vcc_lo, 0, v12, vcc_lo
	s_delay_alu instid0(VALU_DEP_2) | instskip(NEXT) | instid1(VALU_DEP_2)
	v_add_co_u32 v6, vcc_lo, v7, v6
	v_add_co_ci_u32_e32 v7, vcc_lo, 0, v8, vcc_lo
	s_delay_alu instid0(VALU_DEP_2) | instskip(NEXT) | instid1(VALU_DEP_2)
	v_add_co_u32 v8, vcc_lo, v4, v6
	v_add_co_ci_u32_e32 v10, vcc_lo, v5, v7, vcc_lo
	s_delay_alu instid0(VALU_DEP_2) | instskip(SKIP_1) | instid1(VALU_DEP_3)
	v_mul_hi_u32 v11, v2, v8
	v_mad_u64_u32 v[6:7], null, v3, v8, 0
	v_mad_u64_u32 v[4:5], null, v2, v10, 0
	;; [unrolled: 1-line block ×3, first 2 shown]
	s_delay_alu instid0(VALU_DEP_2) | instskip(NEXT) | instid1(VALU_DEP_3)
	v_add_co_u32 v4, vcc_lo, v11, v4
	v_add_co_ci_u32_e32 v5, vcc_lo, 0, v5, vcc_lo
	s_delay_alu instid0(VALU_DEP_2) | instskip(NEXT) | instid1(VALU_DEP_2)
	v_add_co_u32 v4, vcc_lo, v4, v6
	v_add_co_ci_u32_e32 v4, vcc_lo, v5, v7, vcc_lo
	v_add_co_ci_u32_e32 v5, vcc_lo, 0, v9, vcc_lo
	s_delay_alu instid0(VALU_DEP_2) | instskip(NEXT) | instid1(VALU_DEP_2)
	v_add_co_u32 v6, vcc_lo, v4, v8
	v_add_co_ci_u32_e32 v7, vcc_lo, 0, v5, vcc_lo
	s_delay_alu instid0(VALU_DEP_2) | instskip(SKIP_1) | instid1(VALU_DEP_3)
	v_mul_lo_u32 v8, s11, v6
	v_mad_u64_u32 v[4:5], null, s10, v6, 0
	v_mul_lo_u32 v7, s10, v7
	s_delay_alu instid0(VALU_DEP_2) | instskip(NEXT) | instid1(VALU_DEP_2)
	v_sub_co_u32 v4, vcc_lo, v2, v4
	v_add3_u32 v5, v5, v7, v8
	v_add_co_u32 v8, s0, v6, 2
	s_delay_alu instid0(VALU_DEP_2) | instskip(NEXT) | instid1(VALU_DEP_1)
	v_sub_nc_u32_e32 v7, v3, v5
	v_subrev_co_ci_u32_e64 v7, s0, s11, v7, vcc_lo
	v_sub_co_u32 v9, s0, v4, s10
	v_sub_co_ci_u32_e32 v3, vcc_lo, v3, v5, vcc_lo
	s_delay_alu instid0(VALU_DEP_3) | instskip(NEXT) | instid1(VALU_DEP_3)
	v_subrev_co_ci_u32_e64 v7, s0, 0, v7, s0
	v_cmp_le_u32_e32 vcc_lo, s10, v9
	v_cndmask_b32_e64 v5, 0, -1, vcc_lo
	s_delay_alu instid0(VALU_DEP_3)
	v_cmp_le_u32_e32 vcc_lo, s11, v7
	v_cndmask_b32_e64 v9, 0, -1, vcc_lo
	v_cmp_le_u32_e32 vcc_lo, s10, v4
	v_cndmask_b32_e64 v4, 0, -1, vcc_lo
	v_cmp_le_u32_e32 vcc_lo, s11, v3
	v_cndmask_b32_e64 v10, 0, -1, vcc_lo
	v_cmp_eq_u32_e32 vcc_lo, s11, v7
	v_cndmask_b32_e32 v5, v9, v5, vcc_lo
	v_add_co_u32 v7, vcc_lo, v6, 1
	v_cmp_eq_u32_e32 vcc_lo, s11, v3
	v_cndmask_b32_e32 v3, v10, v4, vcc_lo
	s_delay_alu instid0(VALU_DEP_4) | instskip(NEXT) | instid1(VALU_DEP_4)
	v_cmp_ne_u32_e32 vcc_lo, 0, v5
	v_cndmask_b32_e32 v4, v7, v8, vcc_lo
	s_delay_alu instid0(VALU_DEP_3) | instskip(NEXT) | instid1(VALU_DEP_2)
	v_cmp_ne_u32_e32 vcc_lo, 0, v3
	v_cndmask_b32_e32 v4, v6, v4, vcc_lo
.LBB13_7:
	s_and_not1_saveexec_b32 s0, s1
	s_cbranch_execz .LBB13_9
; %bb.8:
	v_cvt_f32_u32_e32 v3, s10
	s_sub_i32 s1, 0, s10
	s_delay_alu instid0(VALU_DEP_1) | instskip(SKIP_2) | instid1(VALU_DEP_1)
	v_rcp_iflag_f32_e32 v3, v3
	s_waitcnt_depctr 0xfff
	v_mul_f32_e32 v3, 0x4f7ffffe, v3
	v_cvt_u32_f32_e32 v3, v3
	s_delay_alu instid0(VALU_DEP_1) | instskip(NEXT) | instid1(VALU_DEP_1)
	v_mul_lo_u32 v4, s1, v3
	v_mul_hi_u32 v4, v3, v4
	s_delay_alu instid0(VALU_DEP_1) | instskip(NEXT) | instid1(VALU_DEP_1)
	v_add_nc_u32_e32 v3, v3, v4
	v_mul_hi_u32 v3, v2, v3
	s_delay_alu instid0(VALU_DEP_1) | instskip(SKIP_1) | instid1(VALU_DEP_2)
	v_mul_lo_u32 v4, v3, s10
	v_add_nc_u32_e32 v5, 1, v3
	v_sub_nc_u32_e32 v4, v2, v4
	s_delay_alu instid0(VALU_DEP_1) | instskip(SKIP_1) | instid1(VALU_DEP_2)
	v_subrev_nc_u32_e32 v6, s10, v4
	v_cmp_le_u32_e32 vcc_lo, s10, v4
	v_dual_cndmask_b32 v4, v4, v6 :: v_dual_cndmask_b32 v3, v3, v5
	s_delay_alu instid0(VALU_DEP_1) | instskip(NEXT) | instid1(VALU_DEP_2)
	v_cmp_le_u32_e32 vcc_lo, s10, v4
	v_add_nc_u32_e32 v5, 1, v3
	s_delay_alu instid0(VALU_DEP_1)
	v_cndmask_b32_e32 v4, v3, v5, vcc_lo
.LBB13_9:
	s_or_b32 exec_lo, exec_lo, s0
	s_mov_b32 s0, 0x19660d
	s_delay_alu instid0(SALU_CYCLE_1) | instskip(NEXT) | instid1(VALU_DEP_1)
	v_mad_u64_u32 v[5:6], null, v0, s0, 0x3c6ef35f
	v_mov_b32_e32 v3, v6
	s_delay_alu instid0(VALU_DEP_1) | instskip(SKIP_1) | instid1(VALU_DEP_2)
	v_mad_u64_u32 v[6:7], null, 0x19660d, v1, v[3:4]
	v_lshlrev_b64 v[0:1], 3, v[0:1]
	v_lshlrev_b64 v[7:8], 13, v[5:6]
	s_delay_alu instid0(VALU_DEP_1) | instskip(NEXT) | instid1(VALU_DEP_2)
	v_xor_b32_e32 v6, v8, v6
	v_xor_b32_e32 v5, v7, v5
	s_delay_alu instid0(VALU_DEP_1) | instskip(NEXT) | instid1(VALU_DEP_1)
	v_lshrrev_b64 v[7:8], 17, v[5:6]
	v_xor_b32_e32 v6, v8, v6
	s_delay_alu instid0(VALU_DEP_2) | instskip(NEXT) | instid1(VALU_DEP_1)
	v_xor_b32_e32 v5, v7, v5
	v_lshlrev_b64 v[7:8], 5, v[5:6]
	s_delay_alu instid0(VALU_DEP_1) | instskip(NEXT) | instid1(VALU_DEP_2)
	v_xor_b32_e32 v6, v8, v6
	v_xor_b32_e32 v5, v7, v5
	s_delay_alu instid0(VALU_DEP_1) | instskip(NEXT) | instid1(VALU_DEP_1)
	v_lshlrev_b64 v[7:8], 13, v[5:6]
	v_xor_b32_e32 v6, v8, v6
	s_delay_alu instid0(VALU_DEP_2) | instskip(NEXT) | instid1(VALU_DEP_1)
	v_xor_b32_e32 v5, v7, v5
	v_lshrrev_b64 v[7:8], 17, v[5:6]
	s_delay_alu instid0(VALU_DEP_1) | instskip(NEXT) | instid1(VALU_DEP_2)
	v_xor_b32_e32 v6, v8, v6
	v_xor_b32_e32 v5, v7, v5
	s_delay_alu instid0(VALU_DEP_1) | instskip(NEXT) | instid1(VALU_DEP_1)
	v_lshlrev_b64 v[7:8], 5, v[5:6]
	v_xor_b32_e32 v6, v8, v6
	s_delay_alu instid0(VALU_DEP_2) | instskip(NEXT) | instid1(VALU_DEP_1)
	v_xor_b32_e32 v5, v7, v5
	v_lshlrev_b64 v[7:8], 13, v[5:6]
	s_delay_alu instid0(VALU_DEP_1) | instskip(NEXT) | instid1(VALU_DEP_2)
	v_xor_b32_e32 v3, v8, v6
	v_xor_b32_e32 v5, v7, v5
	s_delay_alu instid0(VALU_DEP_1) | instskip(NEXT) | instid1(VALU_DEP_1)
	v_alignbit_b32 v3, v3, v5, 17
	v_xor_b32_e32 v3, v3, v5
	s_delay_alu instid0(VALU_DEP_1) | instskip(NEXT) | instid1(VALU_DEP_1)
	v_lshlrev_b32_e32 v5, 5, v3
	v_xor_b32_e32 v3, v5, v3
	s_delay_alu instid0(VALU_DEP_1) | instskip(NEXT) | instid1(VALU_DEP_1)
	v_mul_hi_u32 v5, 0xcccccccd, v3
	v_lshrrev_b32_e32 v5, 3, v5
	s_delay_alu instid0(VALU_DEP_1) | instskip(NEXT) | instid1(VALU_DEP_1)
	v_mul_lo_u32 v5, v5, 10
	v_sub_nc_u32_e32 v3, v3, v5
	s_delay_alu instid0(VALU_DEP_1) | instskip(NEXT) | instid1(VALU_DEP_1)
	v_add_nc_u32_e32 v3, 1, v3
	v_cvt_f64_u32_e32 v[5:6], v3
	v_mul_lo_u32 v3, v4, s10
	s_delay_alu instid0(VALU_DEP_1) | instskip(NEXT) | instid1(VALU_DEP_1)
	v_sub_nc_u32_e32 v2, v2, v3
	v_xor_b32_e32 v2, v2, v4
	s_delay_alu instid0(VALU_DEP_1) | instskip(NEXT) | instid1(VALU_DEP_1)
	v_and_b32_e32 v2, 1, v2
	v_cmp_eq_u32_e32 vcc_lo, 0, v2
	v_cndmask_b32_e32 v2, v5, v5, vcc_lo
	v_xor_b32_e32 v3, 0x80000000, v6
	s_delay_alu instid0(VALU_DEP_1)
	v_cndmask_b32_e32 v3, v6, v3, vcc_lo
	v_add_co_u32 v0, vcc_lo, s4, v0
	v_add_co_ci_u32_e32 v1, vcc_lo, s5, v1, vcc_lo
	global_store_b64 v[0:1], v[2:3], off
.LBB13_10:
	s_nop 0
	s_sendmsg sendmsg(MSG_DEALLOC_VGPRS)
	s_endpgm
	.section	.rodata,"a",@progbits
	.p2align	6, 0x0
	.amdhsa_kernel _Z11fill_kernelIdZ21hipblaslt_init_deviceIdEv8ABC_dims24hipblaslt_initializationbPT_mmmmmEUlmE1_EvS4_mmT0_
		.amdhsa_group_segment_fixed_size 0
		.amdhsa_private_segment_fixed_size 0
		.amdhsa_kernarg_size 296
		.amdhsa_user_sgpr_count 15
		.amdhsa_user_sgpr_dispatch_ptr 0
		.amdhsa_user_sgpr_queue_ptr 0
		.amdhsa_user_sgpr_kernarg_segment_ptr 1
		.amdhsa_user_sgpr_dispatch_id 0
		.amdhsa_user_sgpr_private_segment_size 0
		.amdhsa_wavefront_size32 1
		.amdhsa_uses_dynamic_stack 0
		.amdhsa_enable_private_segment 0
		.amdhsa_system_sgpr_workgroup_id_x 1
		.amdhsa_system_sgpr_workgroup_id_y 0
		.amdhsa_system_sgpr_workgroup_id_z 0
		.amdhsa_system_sgpr_workgroup_info 0
		.amdhsa_system_vgpr_workitem_id 0
		.amdhsa_next_free_vgpr 13
		.amdhsa_next_free_sgpr 16
		.amdhsa_reserve_vcc 1
		.amdhsa_float_round_mode_32 0
		.amdhsa_float_round_mode_16_64 0
		.amdhsa_float_denorm_mode_32 3
		.amdhsa_float_denorm_mode_16_64 3
		.amdhsa_dx10_clamp 1
		.amdhsa_ieee_mode 1
		.amdhsa_fp16_overflow 0
		.amdhsa_workgroup_processor_mode 1
		.amdhsa_memory_ordered 1
		.amdhsa_forward_progress 0
		.amdhsa_shared_vgpr_count 0
		.amdhsa_exception_fp_ieee_invalid_op 0
		.amdhsa_exception_fp_denorm_src 0
		.amdhsa_exception_fp_ieee_div_zero 0
		.amdhsa_exception_fp_ieee_overflow 0
		.amdhsa_exception_fp_ieee_underflow 0
		.amdhsa_exception_fp_ieee_inexact 0
		.amdhsa_exception_int_div_zero 0
	.end_amdhsa_kernel
	.section	.text._Z11fill_kernelIdZ21hipblaslt_init_deviceIdEv8ABC_dims24hipblaslt_initializationbPT_mmmmmEUlmE1_EvS4_mmT0_,"axG",@progbits,_Z11fill_kernelIdZ21hipblaslt_init_deviceIdEv8ABC_dims24hipblaslt_initializationbPT_mmmmmEUlmE1_EvS4_mmT0_,comdat
.Lfunc_end13:
	.size	_Z11fill_kernelIdZ21hipblaslt_init_deviceIdEv8ABC_dims24hipblaslt_initializationbPT_mmmmmEUlmE1_EvS4_mmT0_, .Lfunc_end13-_Z11fill_kernelIdZ21hipblaslt_init_deviceIdEv8ABC_dims24hipblaslt_initializationbPT_mmmmmEUlmE1_EvS4_mmT0_
                                        ; -- End function
	.section	.AMDGPU.csdata,"",@progbits
; Kernel info:
; codeLenInByte = 2248
; NumSgprs: 18
; NumVgprs: 13
; ScratchSize: 0
; MemoryBound: 0
; FloatMode: 240
; IeeeMode: 1
; LDSByteSize: 0 bytes/workgroup (compile time only)
; SGPRBlocks: 2
; VGPRBlocks: 1
; NumSGPRsForWavesPerEU: 18
; NumVGPRsForWavesPerEU: 13
; Occupancy: 16
; WaveLimiterHint : 0
; COMPUTE_PGM_RSRC2:SCRATCH_EN: 0
; COMPUTE_PGM_RSRC2:USER_SGPR: 15
; COMPUTE_PGM_RSRC2:TRAP_HANDLER: 0
; COMPUTE_PGM_RSRC2:TGID_X_EN: 1
; COMPUTE_PGM_RSRC2:TGID_Y_EN: 0
; COMPUTE_PGM_RSRC2:TGID_Z_EN: 0
; COMPUTE_PGM_RSRC2:TIDIG_COMP_CNT: 0
	.section	.text._Z11fill_kernelIdZ21hipblaslt_init_deviceIdEv8ABC_dims24hipblaslt_initializationbPT_mmmmmEUlmE2_EvS4_mmT0_,"axG",@progbits,_Z11fill_kernelIdZ21hipblaslt_init_deviceIdEv8ABC_dims24hipblaslt_initializationbPT_mmmmmEUlmE2_EvS4_mmT0_,comdat
	.protected	_Z11fill_kernelIdZ21hipblaslt_init_deviceIdEv8ABC_dims24hipblaslt_initializationbPT_mmmmmEUlmE2_EvS4_mmT0_ ; -- Begin function _Z11fill_kernelIdZ21hipblaslt_init_deviceIdEv8ABC_dims24hipblaslt_initializationbPT_mmmmmEUlmE2_EvS4_mmT0_
	.globl	_Z11fill_kernelIdZ21hipblaslt_init_deviceIdEv8ABC_dims24hipblaslt_initializationbPT_mmmmmEUlmE2_EvS4_mmT0_
	.p2align	8
	.type	_Z11fill_kernelIdZ21hipblaslt_init_deviceIdEv8ABC_dims24hipblaslt_initializationbPT_mmmmmEUlmE2_EvS4_mmT0_,@function
_Z11fill_kernelIdZ21hipblaslt_init_deviceIdEv8ABC_dims24hipblaslt_initializationbPT_mmmmmEUlmE2_EvS4_mmT0_: ; @_Z11fill_kernelIdZ21hipblaslt_init_deviceIdEv8ABC_dims24hipblaslt_initializationbPT_mmmmmEUlmE2_EvS4_mmT0_
; %bb.0:
	s_clause 0x1
	s_load_b32 s2, s[0:1], 0x44
	s_load_b128 s[16:19], s[0:1], 0x0
	s_waitcnt lgkmcnt(0)
	s_and_b32 s2, s2, 0xffff
	s_delay_alu instid0(SALU_CYCLE_1) | instskip(SKIP_2) | instid1(VALU_DEP_1)
	v_mad_u64_u32 v[1:2], null, s15, s2, v[0:1]
	v_mov_b32_e32 v2, 0
	s_mov_b32 s2, exec_lo
	v_cmpx_gt_u64_e64 s[18:19], v[1:2]
	s_cbranch_execz .LBB14_14
; %bb.1:
	s_clause 0x1
	s_load_b64 s[2:3], s[0:1], 0x10
	s_load_b256 s[4:11], s[0:1], 0x18
	s_waitcnt lgkmcnt(0)
	v_add_co_u32 v0, s0, v1, s2
	s_delay_alu instid0(VALU_DEP_1) | instskip(NEXT) | instid1(VALU_DEP_1)
	v_add_co_ci_u32_e64 v1, null, 0, s3, s0
	v_or_b32_e32 v3, s9, v1
	s_delay_alu instid0(VALU_DEP_1) | instskip(SKIP_1) | instid1(SALU_CYCLE_1)
	v_cmp_ne_u64_e32 vcc_lo, 0, v[2:3]
                                        ; implicit-def: $vgpr2_vgpr3
	s_and_saveexec_b32 s0, vcc_lo
	s_xor_b32 s1, exec_lo, s0
	s_cbranch_execz .LBB14_3
; %bb.2:
	v_cvt_f32_u32_e32 v2, s8
	v_cvt_f32_u32_e32 v3, s9
	s_sub_u32 s0, 0, s8
	s_subb_u32 s2, 0, s9
	s_delay_alu instid0(VALU_DEP_1) | instskip(NEXT) | instid1(VALU_DEP_1)
	v_fmamk_f32 v2, v3, 0x4f800000, v2
	v_rcp_f32_e32 v2, v2
	s_waitcnt_depctr 0xfff
	v_mul_f32_e32 v2, 0x5f7ffffc, v2
	s_delay_alu instid0(VALU_DEP_1) | instskip(NEXT) | instid1(VALU_DEP_1)
	v_mul_f32_e32 v3, 0x2f800000, v2
	v_trunc_f32_e32 v3, v3
	s_delay_alu instid0(VALU_DEP_1) | instskip(SKIP_1) | instid1(VALU_DEP_2)
	v_fmamk_f32 v2, v3, 0xcf800000, v2
	v_cvt_u32_f32_e32 v3, v3
	v_cvt_u32_f32_e32 v2, v2
	s_delay_alu instid0(VALU_DEP_2) | instskip(NEXT) | instid1(VALU_DEP_2)
	v_mul_lo_u32 v4, s0, v3
	v_mul_hi_u32 v5, s0, v2
	v_mul_lo_u32 v6, s2, v2
	s_delay_alu instid0(VALU_DEP_2) | instskip(SKIP_1) | instid1(VALU_DEP_2)
	v_add_nc_u32_e32 v4, v5, v4
	v_mul_lo_u32 v5, s0, v2
	v_add_nc_u32_e32 v4, v4, v6
	s_delay_alu instid0(VALU_DEP_2) | instskip(NEXT) | instid1(VALU_DEP_2)
	v_mul_hi_u32 v6, v2, v5
	v_mul_lo_u32 v7, v2, v4
	v_mul_hi_u32 v8, v2, v4
	v_mul_hi_u32 v9, v3, v5
	v_mul_lo_u32 v5, v3, v5
	v_mul_hi_u32 v10, v3, v4
	v_mul_lo_u32 v4, v3, v4
	v_add_co_u32 v6, vcc_lo, v6, v7
	v_add_co_ci_u32_e32 v7, vcc_lo, 0, v8, vcc_lo
	s_delay_alu instid0(VALU_DEP_2) | instskip(NEXT) | instid1(VALU_DEP_2)
	v_add_co_u32 v5, vcc_lo, v6, v5
	v_add_co_ci_u32_e32 v5, vcc_lo, v7, v9, vcc_lo
	v_add_co_ci_u32_e32 v6, vcc_lo, 0, v10, vcc_lo
	s_delay_alu instid0(VALU_DEP_2) | instskip(NEXT) | instid1(VALU_DEP_2)
	v_add_co_u32 v4, vcc_lo, v5, v4
	v_add_co_ci_u32_e32 v5, vcc_lo, 0, v6, vcc_lo
	s_delay_alu instid0(VALU_DEP_2) | instskip(NEXT) | instid1(VALU_DEP_2)
	v_add_co_u32 v2, vcc_lo, v2, v4
	v_add_co_ci_u32_e32 v3, vcc_lo, v3, v5, vcc_lo
	s_delay_alu instid0(VALU_DEP_2) | instskip(SKIP_1) | instid1(VALU_DEP_3)
	v_mul_hi_u32 v4, s0, v2
	v_mul_lo_u32 v6, s2, v2
	v_mul_lo_u32 v5, s0, v3
	s_delay_alu instid0(VALU_DEP_1) | instskip(SKIP_1) | instid1(VALU_DEP_2)
	v_add_nc_u32_e32 v4, v4, v5
	v_mul_lo_u32 v5, s0, v2
	v_add_nc_u32_e32 v4, v4, v6
	s_delay_alu instid0(VALU_DEP_2) | instskip(NEXT) | instid1(VALU_DEP_2)
	v_mul_hi_u32 v6, v2, v5
	v_mul_lo_u32 v7, v2, v4
	v_mul_hi_u32 v8, v2, v4
	v_mul_hi_u32 v9, v3, v5
	v_mul_lo_u32 v5, v3, v5
	v_mul_hi_u32 v10, v3, v4
	v_mul_lo_u32 v4, v3, v4
	v_add_co_u32 v6, vcc_lo, v6, v7
	v_add_co_ci_u32_e32 v7, vcc_lo, 0, v8, vcc_lo
	s_delay_alu instid0(VALU_DEP_2) | instskip(NEXT) | instid1(VALU_DEP_2)
	v_add_co_u32 v5, vcc_lo, v6, v5
	v_add_co_ci_u32_e32 v5, vcc_lo, v7, v9, vcc_lo
	v_add_co_ci_u32_e32 v6, vcc_lo, 0, v10, vcc_lo
	s_delay_alu instid0(VALU_DEP_2) | instskip(NEXT) | instid1(VALU_DEP_2)
	v_add_co_u32 v4, vcc_lo, v5, v4
	v_add_co_ci_u32_e32 v5, vcc_lo, 0, v6, vcc_lo
	s_delay_alu instid0(VALU_DEP_2) | instskip(NEXT) | instid1(VALU_DEP_2)
	v_add_co_u32 v6, vcc_lo, v2, v4
	v_add_co_ci_u32_e32 v8, vcc_lo, v3, v5, vcc_lo
	s_delay_alu instid0(VALU_DEP_2) | instskip(SKIP_1) | instid1(VALU_DEP_3)
	v_mul_hi_u32 v9, v0, v6
	v_mad_u64_u32 v[4:5], null, v1, v6, 0
	v_mad_u64_u32 v[2:3], null, v0, v8, 0
	;; [unrolled: 1-line block ×3, first 2 shown]
	s_delay_alu instid0(VALU_DEP_2) | instskip(NEXT) | instid1(VALU_DEP_3)
	v_add_co_u32 v2, vcc_lo, v9, v2
	v_add_co_ci_u32_e32 v3, vcc_lo, 0, v3, vcc_lo
	s_delay_alu instid0(VALU_DEP_2) | instskip(NEXT) | instid1(VALU_DEP_2)
	v_add_co_u32 v2, vcc_lo, v2, v4
	v_add_co_ci_u32_e32 v2, vcc_lo, v3, v5, vcc_lo
	v_add_co_ci_u32_e32 v3, vcc_lo, 0, v7, vcc_lo
	s_delay_alu instid0(VALU_DEP_2) | instskip(NEXT) | instid1(VALU_DEP_2)
	v_add_co_u32 v4, vcc_lo, v2, v6
	v_add_co_ci_u32_e32 v5, vcc_lo, 0, v3, vcc_lo
	s_delay_alu instid0(VALU_DEP_2) | instskip(SKIP_1) | instid1(VALU_DEP_3)
	v_mul_lo_u32 v6, s9, v4
	v_mad_u64_u32 v[2:3], null, s8, v4, 0
	v_mul_lo_u32 v7, s8, v5
	s_delay_alu instid0(VALU_DEP_2) | instskip(NEXT) | instid1(VALU_DEP_2)
	v_sub_co_u32 v2, vcc_lo, v0, v2
	v_add3_u32 v3, v3, v7, v6
	s_delay_alu instid0(VALU_DEP_1) | instskip(NEXT) | instid1(VALU_DEP_1)
	v_sub_nc_u32_e32 v6, v1, v3
	v_subrev_co_ci_u32_e64 v6, s0, s9, v6, vcc_lo
	v_add_co_u32 v7, s0, v4, 2
	s_delay_alu instid0(VALU_DEP_1) | instskip(SKIP_3) | instid1(VALU_DEP_3)
	v_add_co_ci_u32_e64 v8, s0, 0, v5, s0
	v_sub_co_u32 v9, s0, v2, s8
	v_sub_co_ci_u32_e32 v3, vcc_lo, v1, v3, vcc_lo
	v_subrev_co_ci_u32_e64 v6, s0, 0, v6, s0
	v_cmp_le_u32_e32 vcc_lo, s8, v9
	s_delay_alu instid0(VALU_DEP_3) | instskip(SKIP_1) | instid1(VALU_DEP_4)
	v_cmp_eq_u32_e64 s0, s9, v3
	v_cndmask_b32_e64 v9, 0, -1, vcc_lo
	v_cmp_le_u32_e32 vcc_lo, s9, v6
	v_cndmask_b32_e64 v10, 0, -1, vcc_lo
	v_cmp_le_u32_e32 vcc_lo, s8, v2
	;; [unrolled: 2-line block ×3, first 2 shown]
	v_cndmask_b32_e64 v11, 0, -1, vcc_lo
	v_cmp_eq_u32_e32 vcc_lo, s9, v6
	s_delay_alu instid0(VALU_DEP_2) | instskip(SKIP_3) | instid1(VALU_DEP_3)
	v_cndmask_b32_e64 v2, v11, v2, s0
	v_cndmask_b32_e32 v6, v10, v9, vcc_lo
	v_add_co_u32 v9, vcc_lo, v4, 1
	v_add_co_ci_u32_e32 v10, vcc_lo, 0, v5, vcc_lo
	v_cmp_ne_u32_e32 vcc_lo, 0, v6
	s_delay_alu instid0(VALU_DEP_2) | instskip(SKIP_1) | instid1(VALU_DEP_2)
	v_dual_cndmask_b32 v3, v10, v8 :: v_dual_cndmask_b32 v6, v9, v7
	v_cmp_ne_u32_e32 vcc_lo, 0, v2
	v_dual_cndmask_b32 v3, v5, v3 :: v_dual_cndmask_b32 v2, v4, v6
.LBB14_3:
	s_and_not1_saveexec_b32 s0, s1
	s_cbranch_execz .LBB14_5
; %bb.4:
	v_cvt_f32_u32_e32 v2, s8
	s_sub_i32 s1, 0, s8
	s_delay_alu instid0(VALU_DEP_1) | instskip(SKIP_2) | instid1(VALU_DEP_1)
	v_rcp_iflag_f32_e32 v2, v2
	s_waitcnt_depctr 0xfff
	v_mul_f32_e32 v2, 0x4f7ffffe, v2
	v_cvt_u32_f32_e32 v2, v2
	s_delay_alu instid0(VALU_DEP_1) | instskip(NEXT) | instid1(VALU_DEP_1)
	v_mul_lo_u32 v3, s1, v2
	v_mul_hi_u32 v3, v2, v3
	s_delay_alu instid0(VALU_DEP_1) | instskip(NEXT) | instid1(VALU_DEP_1)
	v_add_nc_u32_e32 v2, v2, v3
	v_mul_hi_u32 v2, v0, v2
	s_delay_alu instid0(VALU_DEP_1) | instskip(SKIP_1) | instid1(VALU_DEP_2)
	v_mul_lo_u32 v3, v2, s8
	v_add_nc_u32_e32 v4, 1, v2
	v_sub_nc_u32_e32 v3, v0, v3
	s_delay_alu instid0(VALU_DEP_1) | instskip(SKIP_1) | instid1(VALU_DEP_2)
	v_subrev_nc_u32_e32 v5, s8, v3
	v_cmp_le_u32_e32 vcc_lo, s8, v3
	v_dual_cndmask_b32 v3, v3, v5 :: v_dual_cndmask_b32 v2, v2, v4
	s_delay_alu instid0(VALU_DEP_1) | instskip(NEXT) | instid1(VALU_DEP_2)
	v_cmp_le_u32_e32 vcc_lo, s8, v3
	v_dual_mov_b32 v3, 0 :: v_dual_add_nc_u32 v4, 1, v2
	s_delay_alu instid0(VALU_DEP_1)
	v_cndmask_b32_e32 v2, v2, v4, vcc_lo
.LBB14_5:
	s_or_b32 exec_lo, exec_lo, s0
	s_delay_alu instid0(VALU_DEP_1) | instskip(NEXT) | instid1(VALU_DEP_2)
	v_mul_lo_u32 v6, v3, s8
	v_mul_lo_u32 v7, v2, s9
	v_mad_u64_u32 v[4:5], null, v2, s8, 0
	s_delay_alu instid0(VALU_DEP_1) | instskip(NEXT) | instid1(VALU_DEP_2)
	v_add3_u32 v5, v5, v7, v6
	v_sub_co_u32 v6, vcc_lo, v0, v4
	v_mov_b32_e32 v4, 0
	s_delay_alu instid0(VALU_DEP_3) | instskip(NEXT) | instid1(VALU_DEP_1)
	v_sub_co_ci_u32_e32 v7, vcc_lo, v1, v5, vcc_lo
	v_or_b32_e32 v5, s11, v7
	s_delay_alu instid0(VALU_DEP_1) | instskip(SKIP_1) | instid1(SALU_CYCLE_1)
	v_cmp_ne_u64_e32 vcc_lo, 0, v[4:5]
                                        ; implicit-def: $vgpr4_vgpr5
	s_and_saveexec_b32 s0, vcc_lo
	s_xor_b32 s1, exec_lo, s0
	s_cbranch_execz .LBB14_7
; %bb.6:
	v_cvt_f32_u32_e32 v4, s10
	v_cvt_f32_u32_e32 v5, s11
	s_sub_u32 s0, 0, s10
	s_subb_u32 s2, 0, s11
	s_delay_alu instid0(VALU_DEP_1) | instskip(NEXT) | instid1(VALU_DEP_1)
	v_fmamk_f32 v4, v5, 0x4f800000, v4
	v_rcp_f32_e32 v4, v4
	s_waitcnt_depctr 0xfff
	v_mul_f32_e32 v4, 0x5f7ffffc, v4
	s_delay_alu instid0(VALU_DEP_1) | instskip(NEXT) | instid1(VALU_DEP_1)
	v_mul_f32_e32 v5, 0x2f800000, v4
	v_trunc_f32_e32 v5, v5
	s_delay_alu instid0(VALU_DEP_1) | instskip(SKIP_1) | instid1(VALU_DEP_2)
	v_fmamk_f32 v4, v5, 0xcf800000, v4
	v_cvt_u32_f32_e32 v5, v5
	v_cvt_u32_f32_e32 v4, v4
	s_delay_alu instid0(VALU_DEP_2) | instskip(NEXT) | instid1(VALU_DEP_2)
	v_mul_lo_u32 v8, s0, v5
	v_mul_hi_u32 v9, s0, v4
	v_mul_lo_u32 v10, s2, v4
	s_delay_alu instid0(VALU_DEP_2) | instskip(SKIP_1) | instid1(VALU_DEP_2)
	v_add_nc_u32_e32 v8, v9, v8
	v_mul_lo_u32 v9, s0, v4
	v_add_nc_u32_e32 v8, v8, v10
	s_delay_alu instid0(VALU_DEP_2) | instskip(NEXT) | instid1(VALU_DEP_2)
	v_mul_hi_u32 v10, v4, v9
	v_mul_lo_u32 v11, v4, v8
	v_mul_hi_u32 v12, v4, v8
	v_mul_hi_u32 v13, v5, v9
	v_mul_lo_u32 v9, v5, v9
	v_mul_hi_u32 v14, v5, v8
	v_mul_lo_u32 v8, v5, v8
	v_add_co_u32 v10, vcc_lo, v10, v11
	v_add_co_ci_u32_e32 v11, vcc_lo, 0, v12, vcc_lo
	s_delay_alu instid0(VALU_DEP_2) | instskip(NEXT) | instid1(VALU_DEP_2)
	v_add_co_u32 v9, vcc_lo, v10, v9
	v_add_co_ci_u32_e32 v9, vcc_lo, v11, v13, vcc_lo
	v_add_co_ci_u32_e32 v10, vcc_lo, 0, v14, vcc_lo
	s_delay_alu instid0(VALU_DEP_2) | instskip(NEXT) | instid1(VALU_DEP_2)
	v_add_co_u32 v8, vcc_lo, v9, v8
	v_add_co_ci_u32_e32 v9, vcc_lo, 0, v10, vcc_lo
	s_delay_alu instid0(VALU_DEP_2) | instskip(NEXT) | instid1(VALU_DEP_2)
	v_add_co_u32 v4, vcc_lo, v4, v8
	v_add_co_ci_u32_e32 v5, vcc_lo, v5, v9, vcc_lo
	s_delay_alu instid0(VALU_DEP_2) | instskip(SKIP_1) | instid1(VALU_DEP_3)
	v_mul_hi_u32 v8, s0, v4
	v_mul_lo_u32 v10, s2, v4
	v_mul_lo_u32 v9, s0, v5
	s_delay_alu instid0(VALU_DEP_1) | instskip(SKIP_1) | instid1(VALU_DEP_2)
	v_add_nc_u32_e32 v8, v8, v9
	v_mul_lo_u32 v9, s0, v4
	v_add_nc_u32_e32 v8, v8, v10
	s_delay_alu instid0(VALU_DEP_2) | instskip(NEXT) | instid1(VALU_DEP_2)
	v_mul_hi_u32 v10, v4, v9
	v_mul_lo_u32 v11, v4, v8
	v_mul_hi_u32 v12, v4, v8
	v_mul_hi_u32 v13, v5, v9
	v_mul_lo_u32 v9, v5, v9
	v_mul_hi_u32 v14, v5, v8
	v_mul_lo_u32 v8, v5, v8
	v_add_co_u32 v10, vcc_lo, v10, v11
	v_add_co_ci_u32_e32 v11, vcc_lo, 0, v12, vcc_lo
	s_delay_alu instid0(VALU_DEP_2) | instskip(NEXT) | instid1(VALU_DEP_2)
	v_add_co_u32 v9, vcc_lo, v10, v9
	v_add_co_ci_u32_e32 v9, vcc_lo, v11, v13, vcc_lo
	v_add_co_ci_u32_e32 v10, vcc_lo, 0, v14, vcc_lo
	s_delay_alu instid0(VALU_DEP_2) | instskip(NEXT) | instid1(VALU_DEP_2)
	v_add_co_u32 v8, vcc_lo, v9, v8
	v_add_co_ci_u32_e32 v9, vcc_lo, 0, v10, vcc_lo
	s_delay_alu instid0(VALU_DEP_2) | instskip(NEXT) | instid1(VALU_DEP_2)
	v_add_co_u32 v10, vcc_lo, v4, v8
	v_add_co_ci_u32_e32 v12, vcc_lo, v5, v9, vcc_lo
	s_delay_alu instid0(VALU_DEP_2) | instskip(SKIP_1) | instid1(VALU_DEP_3)
	v_mul_hi_u32 v13, v6, v10
	v_mad_u64_u32 v[8:9], null, v7, v10, 0
	v_mad_u64_u32 v[4:5], null, v6, v12, 0
	;; [unrolled: 1-line block ×3, first 2 shown]
	s_delay_alu instid0(VALU_DEP_2) | instskip(NEXT) | instid1(VALU_DEP_3)
	v_add_co_u32 v4, vcc_lo, v13, v4
	v_add_co_ci_u32_e32 v5, vcc_lo, 0, v5, vcc_lo
	s_delay_alu instid0(VALU_DEP_2) | instskip(NEXT) | instid1(VALU_DEP_2)
	v_add_co_u32 v4, vcc_lo, v4, v8
	v_add_co_ci_u32_e32 v4, vcc_lo, v5, v9, vcc_lo
	v_add_co_ci_u32_e32 v5, vcc_lo, 0, v11, vcc_lo
	s_delay_alu instid0(VALU_DEP_2) | instskip(NEXT) | instid1(VALU_DEP_2)
	v_add_co_u32 v8, vcc_lo, v4, v10
	v_add_co_ci_u32_e32 v9, vcc_lo, 0, v5, vcc_lo
	s_delay_alu instid0(VALU_DEP_2) | instskip(SKIP_1) | instid1(VALU_DEP_3)
	v_mul_lo_u32 v10, s11, v8
	v_mad_u64_u32 v[4:5], null, s10, v8, 0
	v_mul_lo_u32 v11, s10, v9
	s_delay_alu instid0(VALU_DEP_2) | instskip(NEXT) | instid1(VALU_DEP_2)
	v_sub_co_u32 v4, vcc_lo, v6, v4
	v_add3_u32 v5, v5, v11, v10
	s_delay_alu instid0(VALU_DEP_1) | instskip(NEXT) | instid1(VALU_DEP_1)
	v_sub_nc_u32_e32 v10, v7, v5
	v_subrev_co_ci_u32_e64 v10, s0, s11, v10, vcc_lo
	v_add_co_u32 v11, s0, v8, 2
	s_delay_alu instid0(VALU_DEP_1) | instskip(SKIP_3) | instid1(VALU_DEP_3)
	v_add_co_ci_u32_e64 v12, s0, 0, v9, s0
	v_sub_co_u32 v13, s0, v4, s10
	v_sub_co_ci_u32_e32 v5, vcc_lo, v7, v5, vcc_lo
	v_subrev_co_ci_u32_e64 v10, s0, 0, v10, s0
	v_cmp_le_u32_e32 vcc_lo, s10, v13
	s_delay_alu instid0(VALU_DEP_3) | instskip(SKIP_1) | instid1(VALU_DEP_4)
	v_cmp_eq_u32_e64 s0, s11, v5
	v_cndmask_b32_e64 v13, 0, -1, vcc_lo
	v_cmp_le_u32_e32 vcc_lo, s11, v10
	v_cndmask_b32_e64 v14, 0, -1, vcc_lo
	v_cmp_le_u32_e32 vcc_lo, s10, v4
	;; [unrolled: 2-line block ×3, first 2 shown]
	v_cndmask_b32_e64 v15, 0, -1, vcc_lo
	v_cmp_eq_u32_e32 vcc_lo, s11, v10
	s_delay_alu instid0(VALU_DEP_2) | instskip(SKIP_3) | instid1(VALU_DEP_3)
	v_cndmask_b32_e64 v4, v15, v4, s0
	v_cndmask_b32_e32 v10, v14, v13, vcc_lo
	v_add_co_u32 v13, vcc_lo, v8, 1
	v_add_co_ci_u32_e32 v14, vcc_lo, 0, v9, vcc_lo
	v_cmp_ne_u32_e32 vcc_lo, 0, v10
	s_delay_alu instid0(VALU_DEP_2) | instskip(SKIP_1) | instid1(VALU_DEP_2)
	v_dual_cndmask_b32 v5, v14, v12 :: v_dual_cndmask_b32 v10, v13, v11
	v_cmp_ne_u32_e32 vcc_lo, 0, v4
	v_dual_cndmask_b32 v5, v9, v5 :: v_dual_cndmask_b32 v4, v8, v10
.LBB14_7:
	s_and_not1_saveexec_b32 s0, s1
	s_cbranch_execz .LBB14_9
; %bb.8:
	v_cvt_f32_u32_e32 v4, s10
	s_sub_i32 s1, 0, s10
	s_delay_alu instid0(VALU_DEP_1) | instskip(SKIP_2) | instid1(VALU_DEP_1)
	v_rcp_iflag_f32_e32 v4, v4
	s_waitcnt_depctr 0xfff
	v_mul_f32_e32 v4, 0x4f7ffffe, v4
	v_cvt_u32_f32_e32 v4, v4
	s_delay_alu instid0(VALU_DEP_1) | instskip(NEXT) | instid1(VALU_DEP_1)
	v_mul_lo_u32 v5, s1, v4
	v_mul_hi_u32 v5, v4, v5
	s_delay_alu instid0(VALU_DEP_1) | instskip(NEXT) | instid1(VALU_DEP_1)
	v_add_nc_u32_e32 v4, v4, v5
	v_mul_hi_u32 v4, v6, v4
	s_delay_alu instid0(VALU_DEP_1) | instskip(SKIP_1) | instid1(VALU_DEP_2)
	v_mul_lo_u32 v5, v4, s10
	v_add_nc_u32_e32 v8, 1, v4
	v_sub_nc_u32_e32 v5, v6, v5
	s_delay_alu instid0(VALU_DEP_1) | instskip(SKIP_1) | instid1(VALU_DEP_2)
	v_subrev_nc_u32_e32 v9, s10, v5
	v_cmp_le_u32_e32 vcc_lo, s10, v5
	v_dual_cndmask_b32 v5, v5, v9 :: v_dual_cndmask_b32 v4, v4, v8
	s_delay_alu instid0(VALU_DEP_1) | instskip(NEXT) | instid1(VALU_DEP_2)
	v_cmp_le_u32_e32 vcc_lo, s10, v5
	v_dual_mov_b32 v5, 0 :: v_dual_add_nc_u32 v8, 1, v4
	s_delay_alu instid0(VALU_DEP_1)
	v_cndmask_b32_e32 v4, v4, v8, vcc_lo
.LBB14_9:
	s_or_b32 exec_lo, exec_lo, s0
	s_delay_alu instid0(VALU_DEP_1) | instskip(NEXT) | instid1(VALU_DEP_2)
	v_mul_lo_u32 v12, v5, s10
	v_mul_lo_u32 v13, v4, s11
	v_mad_u64_u32 v[8:9], null, v4, s10, 0
	v_mad_u64_u32 v[10:11], null, v2, s6, v[4:5]
	v_mul_lo_u32 v2, v2, s7
	v_mul_lo_u32 v3, v3, s6
	s_delay_alu instid0(VALU_DEP_4) | instskip(NEXT) | instid1(VALU_DEP_2)
	v_add3_u32 v4, v9, v13, v12
	v_add3_u32 v5, v3, v11, v2
	v_sub_co_u32 v2, vcc_lo, v6, v8
	s_delay_alu instid0(VALU_DEP_3) | instskip(SKIP_1) | instid1(VALU_DEP_4)
	v_sub_co_ci_u32_e32 v3, vcc_lo, v7, v4, vcc_lo
	v_mul_lo_u32 v6, v10, s5
	v_mul_lo_u32 v7, v5, s4
                                        ; implicit-def: $vgpr8
	s_delay_alu instid0(VALU_DEP_3) | instskip(NEXT) | instid1(VALU_DEP_1)
	v_mad_u64_u32 v[4:5], null, v10, s4, v[2:3]
	v_add3_u32 v5, v7, v5, v6
	s_delay_alu instid0(VALU_DEP_2) | instskip(NEXT) | instid1(VALU_DEP_2)
	v_cvt_f64_u32_e32 v[6:7], v4
	v_cvt_f64_u32_e32 v[2:3], v5
	v_cmp_lt_u64_e32 vcc_lo, 0x3fffffff, v[4:5]
                                        ; implicit-def: $vgpr4_vgpr5
	s_delay_alu instid0(VALU_DEP_2) | instskip(NEXT) | instid1(VALU_DEP_1)
	v_ldexp_f64 v[2:3], v[2:3], 32
	v_add_f64 v[2:3], v[2:3], v[6:7]
                                        ; implicit-def: $vgpr6_vgpr7
	s_and_saveexec_b32 s0, vcc_lo
	s_delay_alu instid0(SALU_CYCLE_1)
	s_xor_b32 s1, exec_lo, s0
	s_cbranch_execz .LBB14_11
; %bb.10:
	s_delay_alu instid0(VALU_DEP_1)
	v_trig_preop_f64 v[4:5], v[2:3], 0
	v_trig_preop_f64 v[6:7], v[2:3], 1
	v_trig_preop_f64 v[16:17], v[2:3], 2
	v_mov_b32_e32 v24, 0
	s_mov_b32 s2, 0x54442d18
	s_mov_b32 s3, 0x3ff921fb
	;; [unrolled: 1-line block ×4, first 2 shown]
	s_delay_alu instid0(VALU_DEP_4) | instskip(NEXT) | instid1(VALU_DEP_4)
	v_mul_f64 v[8:9], v[4:5], v[2:3]
	v_mul_f64 v[10:11], v[6:7], v[2:3]
	s_delay_alu instid0(VALU_DEP_4) | instskip(NEXT) | instid1(VALU_DEP_3)
	v_mul_f64 v[22:23], v[16:17], v[2:3]
	v_fma_f64 v[4:5], v[4:5], v[2:3], -v[8:9]
	s_delay_alu instid0(VALU_DEP_3) | instskip(NEXT) | instid1(VALU_DEP_3)
	v_fma_f64 v[6:7], v[6:7], v[2:3], -v[10:11]
	v_fma_f64 v[16:17], v[16:17], v[2:3], -v[22:23]
	s_delay_alu instid0(VALU_DEP_3) | instskip(NEXT) | instid1(VALU_DEP_1)
	v_add_f64 v[12:13], v[10:11], v[4:5]
	v_add_f64 v[14:15], v[12:13], -v[10:11]
	v_add_f64 v[20:21], v[8:9], v[12:13]
	s_delay_alu instid0(VALU_DEP_2) | instskip(SKIP_1) | instid1(VALU_DEP_3)
	v_add_f64 v[18:19], v[12:13], -v[14:15]
	v_add_f64 v[4:5], v[4:5], -v[14:15]
	v_ldexp_f64 v[14:15], v[20:21], -2
	v_add_f64 v[8:9], v[20:21], -v[8:9]
	s_delay_alu instid0(VALU_DEP_4) | instskip(SKIP_1) | instid1(VALU_DEP_4)
	v_add_f64 v[10:11], v[10:11], -v[18:19]
	v_add_f64 v[18:19], v[22:23], v[6:7]
	v_cmp_neq_f64_e64 vcc_lo, 0x7ff00000, |v[14:15]|
	s_delay_alu instid0(VALU_DEP_4) | instskip(NEXT) | instid1(VALU_DEP_4)
	v_add_f64 v[8:9], v[12:13], -v[8:9]
	v_add_f64 v[4:5], v[4:5], v[10:11]
	v_fract_f64_e32 v[10:11], v[14:15]
	s_delay_alu instid0(VALU_DEP_2) | instskip(NEXT) | instid1(VALU_DEP_2)
	v_add_f64 v[12:13], v[18:19], v[4:5]
	v_dual_cndmask_b32 v11, 0, v11 :: v_dual_cndmask_b32 v10, 0, v10
	s_delay_alu instid0(VALU_DEP_1) | instskip(NEXT) | instid1(VALU_DEP_3)
	v_ldexp_f64 v[10:11], v[10:11], 2
	v_add_f64 v[14:15], v[8:9], v[12:13]
	s_delay_alu instid0(VALU_DEP_1) | instskip(SKIP_1) | instid1(VALU_DEP_2)
	v_add_f64 v[20:21], v[14:15], v[10:11]
	v_add_f64 v[8:9], v[14:15], -v[8:9]
	v_cmp_gt_f64_e32 vcc_lo, 0, v[20:21]
	v_add_f64 v[20:21], v[18:19], -v[22:23]
	s_delay_alu instid0(VALU_DEP_3) | instskip(SKIP_1) | instid1(VALU_DEP_3)
	v_add_f64 v[8:9], v[12:13], -v[8:9]
	v_cndmask_b32_e64 v25, 0, 0x40100000, vcc_lo
	v_add_f64 v[29:30], v[18:19], -v[20:21]
	v_add_f64 v[6:7], v[6:7], -v[20:21]
	s_delay_alu instid0(VALU_DEP_3) | instskip(SKIP_1) | instid1(VALU_DEP_4)
	v_add_f64 v[10:11], v[10:11], v[24:25]
	v_add_f64 v[25:26], v[12:13], -v[18:19]
	v_add_f64 v[20:21], v[22:23], -v[29:30]
	s_delay_alu instid0(VALU_DEP_3) | instskip(NEXT) | instid1(VALU_DEP_3)
	v_add_f64 v[27:28], v[14:15], v[10:11]
	v_add_f64 v[31:32], v[12:13], -v[25:26]
	v_add_f64 v[4:5], v[4:5], -v[25:26]
	s_delay_alu instid0(VALU_DEP_4) | instskip(NEXT) | instid1(VALU_DEP_4)
	v_add_f64 v[6:7], v[6:7], v[20:21]
	v_cvt_i32_f64_e32 v27, v[27:28]
	s_delay_alu instid0(VALU_DEP_4) | instskip(NEXT) | instid1(VALU_DEP_2)
	v_add_f64 v[18:19], v[18:19], -v[31:32]
	v_cvt_f64_i32_e32 v[25:26], v27
	s_delay_alu instid0(VALU_DEP_2) | instskip(NEXT) | instid1(VALU_DEP_2)
	v_add_f64 v[4:5], v[4:5], v[18:19]
	v_add_f64 v[10:11], v[10:11], -v[25:26]
	s_delay_alu instid0(VALU_DEP_2) | instskip(NEXT) | instid1(VALU_DEP_2)
	v_add_f64 v[4:5], v[6:7], v[4:5]
	v_add_f64 v[6:7], v[14:15], v[10:11]
	s_delay_alu instid0(VALU_DEP_2) | instskip(NEXT) | instid1(VALU_DEP_2)
	v_add_f64 v[4:5], v[16:17], v[4:5]
	v_add_f64 v[10:11], v[6:7], -v[10:11]
	v_cmp_le_f64_e32 vcc_lo, 0.5, v[6:7]
	s_delay_alu instid0(VALU_DEP_3) | instskip(NEXT) | instid1(VALU_DEP_3)
	v_add_f64 v[4:5], v[8:9], v[4:5]
	v_add_f64 v[9:10], v[14:15], -v[10:11]
	v_cndmask_b32_e64 v25, 0, 0x3ff00000, vcc_lo
	v_add_co_ci_u32_e64 v8, s0, 0, v27, vcc_lo
	s_delay_alu instid0(VALU_DEP_2) | instskip(NEXT) | instid1(VALU_DEP_4)
	v_add_f64 v[6:7], v[6:7], -v[24:25]
	v_add_f64 v[4:5], v[4:5], v[9:10]
	s_delay_alu instid0(VALU_DEP_1) | instskip(NEXT) | instid1(VALU_DEP_1)
	v_add_f64 v[9:10], v[6:7], v[4:5]
	v_mul_f64 v[11:12], v[9:10], s[2:3]
	v_add_f64 v[6:7], v[9:10], -v[6:7]
	s_delay_alu instid0(VALU_DEP_2) | instskip(NEXT) | instid1(VALU_DEP_2)
	v_fma_f64 v[13:14], v[9:10], s[2:3], -v[11:12]
	v_add_f64 v[4:5], v[4:5], -v[6:7]
	s_delay_alu instid0(VALU_DEP_2) | instskip(NEXT) | instid1(VALU_DEP_1)
	v_fma_f64 v[6:7], v[9:10], s[4:5], v[13:14]
	v_fma_f64 v[6:7], v[4:5], s[2:3], v[6:7]
	s_delay_alu instid0(VALU_DEP_1) | instskip(NEXT) | instid1(VALU_DEP_1)
	v_add_f64 v[4:5], v[11:12], v[6:7]
	v_add_f64 v[9:10], v[4:5], -v[11:12]
	s_delay_alu instid0(VALU_DEP_1)
	v_add_f64 v[6:7], v[6:7], -v[9:10]
.LBB14_11:
	s_and_not1_saveexec_b32 s0, s1
	s_cbranch_execz .LBB14_13
; %bb.12:
	s_mov_b32 s2, 0x6dc9c883
	s_mov_b32 s3, 0x3fe45f30
	;; [unrolled: 1-line block ×3, first 2 shown]
	s_delay_alu instid0(VALU_DEP_1) | instskip(SKIP_3) | instid1(VALU_DEP_1)
	v_mul_f64 v[4:5], v[2:3], s[2:3]
	s_mov_b32 s2, 0x54442d18
	s_mov_b32 s3, 0xbff921fb
	;; [unrolled: 1-line block ×3, first 2 shown]
	v_rndne_f64_e32 v[8:9], v[4:5]
	s_delay_alu instid0(VALU_DEP_1) | instskip(SKIP_3) | instid1(VALU_DEP_2)
	v_fma_f64 v[4:5], v[8:9], s[2:3], v[2:3]
	v_mul_f64 v[6:7], v[8:9], s[4:5]
	s_mov_b32 s2, 0x252049c0
	s_mov_b32 s3, 0xb97b839a
	v_fma_f64 v[12:13], v[8:9], s[4:5], v[4:5]
	s_delay_alu instid0(VALU_DEP_2) | instskip(SKIP_1) | instid1(VALU_DEP_1)
	v_add_f64 v[10:11], v[4:5], v[6:7]
	s_mov_b32 s5, 0x3c91a626
	v_add_f64 v[4:5], v[4:5], -v[10:11]
	s_delay_alu instid0(VALU_DEP_3) | instskip(NEXT) | instid1(VALU_DEP_2)
	v_add_f64 v[10:11], v[10:11], -v[12:13]
	v_add_f64 v[4:5], v[4:5], v[6:7]
	v_fma_f64 v[6:7], v[8:9], s[4:5], v[6:7]
	s_delay_alu instid0(VALU_DEP_2) | instskip(NEXT) | instid1(VALU_DEP_1)
	v_add_f64 v[4:5], v[10:11], v[4:5]
	v_add_f64 v[4:5], v[4:5], -v[6:7]
	s_delay_alu instid0(VALU_DEP_1) | instskip(SKIP_1) | instid1(VALU_DEP_2)
	v_fma_f64 v[6:7], v[8:9], s[2:3], v[4:5]
	v_cvt_i32_f64_e32 v8, v[8:9]
	v_add_f64 v[4:5], v[12:13], v[6:7]
	s_delay_alu instid0(VALU_DEP_1) | instskip(NEXT) | instid1(VALU_DEP_1)
	v_add_f64 v[10:11], v[4:5], -v[12:13]
	v_add_f64 v[6:7], v[6:7], -v[10:11]
.LBB14_13:
	s_or_b32 exec_lo, exec_lo, s0
	v_mul_f64 v[9:10], v[4:5], v[4:5]
	s_mov_b32 s0, 0xb42fdfa7
	s_mov_b32 s2, 0xf9a43bb8
	;; [unrolled: 1-line block ×6, first 2 shown]
	s_delay_alu instid0(VALU_DEP_2) | instskip(SKIP_2) | instid1(VALU_DEP_2)
	v_mul_f64 v[19:20], v[6:7], 0.5
	v_lshlrev_b32_e32 v2, 30, v8
	v_lshlrev_b64 v[0:1], 3, v[0:1]
	v_xor_b32_e32 v2, v2, v3
	v_fma_f64 v[11:12], v[9:10], s[2:3], s[0:1]
	s_mov_b32 s0, 0x9037ab78
	s_mov_b32 s2, 0x46cc5e42
	;; [unrolled: 1-line block ×4, first 2 shown]
	v_mul_f64 v[15:16], v[9:10], 0.5
	v_fma_f64 v[13:14], v[9:10], s[2:3], s[0:1]
	s_mov_b32 s0, 0xa17f65f6
	s_mov_b32 s2, 0x19e83e5c
	;; [unrolled: 1-line block ×4, first 2 shown]
	v_mul_f64 v[21:22], v[4:5], -v[9:10]
	s_delay_alu instid0(VALU_DEP_4) | instskip(NEXT) | instid1(VALU_DEP_4)
	v_fma_f64 v[11:12], v[9:10], v[11:12], s[4:5]
	v_add_f64 v[17:18], -v[15:16], 1.0
	s_delay_alu instid0(VALU_DEP_4) | instskip(SKIP_2) | instid1(VALU_DEP_3)
	v_fma_f64 v[13:14], v[9:10], v[13:14], s[0:1]
	s_mov_b32 s0, 0x19f4ec90
	s_mov_b32 s1, 0x3efa01a0
	v_fma_f64 v[11:12], v[9:10], v[11:12], s[2:3]
	s_mov_b32 s2, 0x11110bb3
	s_mov_b32 s3, 0x3f811111
	s_delay_alu instid0(VALU_DEP_3) | instskip(NEXT) | instid1(VALU_DEP_3)
	v_add_f64 v[23:24], -v[17:18], 1.0
	v_fma_f64 v[13:14], v[9:10], v[13:14], s[0:1]
	s_mov_b32 s0, 0x16c16967
	s_mov_b32 s1, 0xbf56c16c
	s_delay_alu instid0(VALU_DEP_3) | instskip(NEXT) | instid1(VALU_DEP_3)
	v_fma_f64 v[11:12], v[9:10], v[11:12], s[2:3]
	v_add_f64 v[15:16], v[23:24], -v[15:16]
	s_delay_alu instid0(VALU_DEP_3) | instskip(SKIP_2) | instid1(VALU_DEP_3)
	v_fma_f64 v[13:14], v[9:10], v[13:14], s[0:1]
	s_mov_b32 s1, 0x3fa55555
	s_mov_b32 s0, 0x55555555
	v_fma_f64 v[11:12], v[21:22], v[11:12], v[19:20]
	v_mul_f64 v[19:20], v[9:10], v[9:10]
	s_delay_alu instid0(VALU_DEP_4) | instskip(NEXT) | instid1(VALU_DEP_4)
	v_fma_f64 v[15:16], v[4:5], -v[6:7], v[15:16]
	v_fma_f64 v[13:14], v[9:10], v[13:14], s[0:1]
	s_mov_b32 s1, 0xbfc55555
	s_delay_alu instid0(VALU_DEP_4) | instskip(NEXT) | instid1(VALU_DEP_2)
	v_fma_f64 v[6:7], v[9:10], v[11:12], -v[6:7]
	v_fma_f64 v[9:10], v[19:20], v[13:14], v[15:16]
	s_delay_alu instid0(VALU_DEP_2) | instskip(NEXT) | instid1(VALU_DEP_2)
	v_fma_f64 v[6:7], v[21:22], s[0:1], v[6:7]
	v_add_f64 v[9:10], v[17:18], v[9:10]
	s_delay_alu instid0(VALU_DEP_2) | instskip(SKIP_1) | instid1(VALU_DEP_1)
	v_add_f64 v[4:5], v[4:5], -v[6:7]
	v_and_b32_e32 v6, 1, v8
	v_cmp_eq_u32_e32 vcc_lo, 0, v6
	s_delay_alu instid0(VALU_DEP_3) | instskip(NEXT) | instid1(VALU_DEP_4)
	v_dual_cndmask_b32 v2, v9, v4 :: v_dual_and_b32 v3, 0x80000000, v2
	v_cndmask_b32_e32 v4, v10, v5, vcc_lo
	v_add_co_u32 v0, vcc_lo, s16, v0
	v_add_co_ci_u32_e32 v1, vcc_lo, s17, v1, vcc_lo
	s_delay_alu instid0(VALU_DEP_3)
	v_xor_b32_e32 v3, v4, v3
	global_store_b64 v[0:1], v[2:3], off
.LBB14_14:
	s_nop 0
	s_sendmsg sendmsg(MSG_DEALLOC_VGPRS)
	s_endpgm
	.section	.rodata,"a",@progbits
	.p2align	6, 0x0
	.amdhsa_kernel _Z11fill_kernelIdZ21hipblaslt_init_deviceIdEv8ABC_dims24hipblaslt_initializationbPT_mmmmmEUlmE2_EvS4_mmT0_
		.amdhsa_group_segment_fixed_size 0
		.amdhsa_private_segment_fixed_size 0
		.amdhsa_kernarg_size 312
		.amdhsa_user_sgpr_count 15
		.amdhsa_user_sgpr_dispatch_ptr 0
		.amdhsa_user_sgpr_queue_ptr 0
		.amdhsa_user_sgpr_kernarg_segment_ptr 1
		.amdhsa_user_sgpr_dispatch_id 0
		.amdhsa_user_sgpr_private_segment_size 0
		.amdhsa_wavefront_size32 1
		.amdhsa_uses_dynamic_stack 0
		.amdhsa_enable_private_segment 0
		.amdhsa_system_sgpr_workgroup_id_x 1
		.amdhsa_system_sgpr_workgroup_id_y 0
		.amdhsa_system_sgpr_workgroup_id_z 0
		.amdhsa_system_sgpr_workgroup_info 0
		.amdhsa_system_vgpr_workitem_id 0
		.amdhsa_next_free_vgpr 33
		.amdhsa_next_free_sgpr 20
		.amdhsa_reserve_vcc 1
		.amdhsa_float_round_mode_32 0
		.amdhsa_float_round_mode_16_64 0
		.amdhsa_float_denorm_mode_32 3
		.amdhsa_float_denorm_mode_16_64 3
		.amdhsa_dx10_clamp 1
		.amdhsa_ieee_mode 1
		.amdhsa_fp16_overflow 0
		.amdhsa_workgroup_processor_mode 1
		.amdhsa_memory_ordered 1
		.amdhsa_forward_progress 0
		.amdhsa_shared_vgpr_count 0
		.amdhsa_exception_fp_ieee_invalid_op 0
		.amdhsa_exception_fp_denorm_src 0
		.amdhsa_exception_fp_ieee_div_zero 0
		.amdhsa_exception_fp_ieee_overflow 0
		.amdhsa_exception_fp_ieee_underflow 0
		.amdhsa_exception_fp_ieee_inexact 0
		.amdhsa_exception_int_div_zero 0
	.end_amdhsa_kernel
	.section	.text._Z11fill_kernelIdZ21hipblaslt_init_deviceIdEv8ABC_dims24hipblaslt_initializationbPT_mmmmmEUlmE2_EvS4_mmT0_,"axG",@progbits,_Z11fill_kernelIdZ21hipblaslt_init_deviceIdEv8ABC_dims24hipblaslt_initializationbPT_mmmmmEUlmE2_EvS4_mmT0_,comdat
.Lfunc_end14:
	.size	_Z11fill_kernelIdZ21hipblaslt_init_deviceIdEv8ABC_dims24hipblaslt_initializationbPT_mmmmmEUlmE2_EvS4_mmT0_, .Lfunc_end14-_Z11fill_kernelIdZ21hipblaslt_init_deviceIdEv8ABC_dims24hipblaslt_initializationbPT_mmmmmEUlmE2_EvS4_mmT0_
                                        ; -- End function
	.section	.AMDGPU.csdata,"",@progbits
; Kernel info:
; codeLenInByte = 3564
; NumSgprs: 22
; NumVgprs: 33
; ScratchSize: 0
; MemoryBound: 0
; FloatMode: 240
; IeeeMode: 1
; LDSByteSize: 0 bytes/workgroup (compile time only)
; SGPRBlocks: 2
; VGPRBlocks: 4
; NumSGPRsForWavesPerEU: 22
; NumVGPRsForWavesPerEU: 33
; Occupancy: 16
; WaveLimiterHint : 0
; COMPUTE_PGM_RSRC2:SCRATCH_EN: 0
; COMPUTE_PGM_RSRC2:USER_SGPR: 15
; COMPUTE_PGM_RSRC2:TRAP_HANDLER: 0
; COMPUTE_PGM_RSRC2:TGID_X_EN: 1
; COMPUTE_PGM_RSRC2:TGID_Y_EN: 0
; COMPUTE_PGM_RSRC2:TGID_Z_EN: 0
; COMPUTE_PGM_RSRC2:TIDIG_COMP_CNT: 0
	.section	.text._Z11fill_kernelIdZ21hipblaslt_init_deviceIdEv8ABC_dims24hipblaslt_initializationbPT_mmmmmEUlmE3_EvS4_mmT0_,"axG",@progbits,_Z11fill_kernelIdZ21hipblaslt_init_deviceIdEv8ABC_dims24hipblaslt_initializationbPT_mmmmmEUlmE3_EvS4_mmT0_,comdat
	.protected	_Z11fill_kernelIdZ21hipblaslt_init_deviceIdEv8ABC_dims24hipblaslt_initializationbPT_mmmmmEUlmE3_EvS4_mmT0_ ; -- Begin function _Z11fill_kernelIdZ21hipblaslt_init_deviceIdEv8ABC_dims24hipblaslt_initializationbPT_mmmmmEUlmE3_EvS4_mmT0_
	.globl	_Z11fill_kernelIdZ21hipblaslt_init_deviceIdEv8ABC_dims24hipblaslt_initializationbPT_mmmmmEUlmE3_EvS4_mmT0_
	.p2align	8
	.type	_Z11fill_kernelIdZ21hipblaslt_init_deviceIdEv8ABC_dims24hipblaslt_initializationbPT_mmmmmEUlmE3_EvS4_mmT0_,@function
_Z11fill_kernelIdZ21hipblaslt_init_deviceIdEv8ABC_dims24hipblaslt_initializationbPT_mmmmmEUlmE3_EvS4_mmT0_: ; @_Z11fill_kernelIdZ21hipblaslt_init_deviceIdEv8ABC_dims24hipblaslt_initializationbPT_mmmmmEUlmE3_EvS4_mmT0_
; %bb.0:
	s_clause 0x1
	s_load_b32 s2, s[0:1], 0x44
	s_load_b128 s[16:19], s[0:1], 0x0
	s_waitcnt lgkmcnt(0)
	s_and_b32 s2, s2, 0xffff
	s_delay_alu instid0(SALU_CYCLE_1) | instskip(SKIP_2) | instid1(VALU_DEP_1)
	v_mad_u64_u32 v[1:2], null, s15, s2, v[0:1]
	v_mov_b32_e32 v2, 0
	s_mov_b32 s2, exec_lo
	v_cmpx_gt_u64_e64 s[18:19], v[1:2]
	s_cbranch_execz .LBB15_14
; %bb.1:
	s_clause 0x1
	s_load_b64 s[2:3], s[0:1], 0x10
	s_load_b256 s[4:11], s[0:1], 0x18
	s_waitcnt lgkmcnt(0)
	v_add_co_u32 v0, s0, v1, s2
	s_delay_alu instid0(VALU_DEP_1) | instskip(NEXT) | instid1(VALU_DEP_1)
	v_add_co_ci_u32_e64 v1, null, 0, s3, s0
	v_or_b32_e32 v3, s9, v1
	s_delay_alu instid0(VALU_DEP_1) | instskip(SKIP_1) | instid1(SALU_CYCLE_1)
	v_cmp_ne_u64_e32 vcc_lo, 0, v[2:3]
                                        ; implicit-def: $vgpr2_vgpr3
	s_and_saveexec_b32 s0, vcc_lo
	s_xor_b32 s1, exec_lo, s0
	s_cbranch_execz .LBB15_3
; %bb.2:
	v_cvt_f32_u32_e32 v2, s8
	v_cvt_f32_u32_e32 v3, s9
	s_sub_u32 s0, 0, s8
	s_subb_u32 s2, 0, s9
	s_delay_alu instid0(VALU_DEP_1) | instskip(NEXT) | instid1(VALU_DEP_1)
	v_fmamk_f32 v2, v3, 0x4f800000, v2
	v_rcp_f32_e32 v2, v2
	s_waitcnt_depctr 0xfff
	v_mul_f32_e32 v2, 0x5f7ffffc, v2
	s_delay_alu instid0(VALU_DEP_1) | instskip(NEXT) | instid1(VALU_DEP_1)
	v_mul_f32_e32 v3, 0x2f800000, v2
	v_trunc_f32_e32 v3, v3
	s_delay_alu instid0(VALU_DEP_1) | instskip(SKIP_1) | instid1(VALU_DEP_2)
	v_fmamk_f32 v2, v3, 0xcf800000, v2
	v_cvt_u32_f32_e32 v3, v3
	v_cvt_u32_f32_e32 v2, v2
	s_delay_alu instid0(VALU_DEP_2) | instskip(NEXT) | instid1(VALU_DEP_2)
	v_mul_lo_u32 v4, s0, v3
	v_mul_hi_u32 v5, s0, v2
	v_mul_lo_u32 v6, s2, v2
	s_delay_alu instid0(VALU_DEP_2) | instskip(SKIP_1) | instid1(VALU_DEP_2)
	v_add_nc_u32_e32 v4, v5, v4
	v_mul_lo_u32 v5, s0, v2
	v_add_nc_u32_e32 v4, v4, v6
	s_delay_alu instid0(VALU_DEP_2) | instskip(NEXT) | instid1(VALU_DEP_2)
	v_mul_hi_u32 v6, v2, v5
	v_mul_lo_u32 v7, v2, v4
	v_mul_hi_u32 v8, v2, v4
	v_mul_hi_u32 v9, v3, v5
	v_mul_lo_u32 v5, v3, v5
	v_mul_hi_u32 v10, v3, v4
	v_mul_lo_u32 v4, v3, v4
	v_add_co_u32 v6, vcc_lo, v6, v7
	v_add_co_ci_u32_e32 v7, vcc_lo, 0, v8, vcc_lo
	s_delay_alu instid0(VALU_DEP_2) | instskip(NEXT) | instid1(VALU_DEP_2)
	v_add_co_u32 v5, vcc_lo, v6, v5
	v_add_co_ci_u32_e32 v5, vcc_lo, v7, v9, vcc_lo
	v_add_co_ci_u32_e32 v6, vcc_lo, 0, v10, vcc_lo
	s_delay_alu instid0(VALU_DEP_2) | instskip(NEXT) | instid1(VALU_DEP_2)
	v_add_co_u32 v4, vcc_lo, v5, v4
	v_add_co_ci_u32_e32 v5, vcc_lo, 0, v6, vcc_lo
	s_delay_alu instid0(VALU_DEP_2) | instskip(NEXT) | instid1(VALU_DEP_2)
	v_add_co_u32 v2, vcc_lo, v2, v4
	v_add_co_ci_u32_e32 v3, vcc_lo, v3, v5, vcc_lo
	s_delay_alu instid0(VALU_DEP_2) | instskip(SKIP_1) | instid1(VALU_DEP_3)
	v_mul_hi_u32 v4, s0, v2
	v_mul_lo_u32 v6, s2, v2
	v_mul_lo_u32 v5, s0, v3
	s_delay_alu instid0(VALU_DEP_1) | instskip(SKIP_1) | instid1(VALU_DEP_2)
	v_add_nc_u32_e32 v4, v4, v5
	v_mul_lo_u32 v5, s0, v2
	v_add_nc_u32_e32 v4, v4, v6
	s_delay_alu instid0(VALU_DEP_2) | instskip(NEXT) | instid1(VALU_DEP_2)
	v_mul_hi_u32 v6, v2, v5
	v_mul_lo_u32 v7, v2, v4
	v_mul_hi_u32 v8, v2, v4
	v_mul_hi_u32 v9, v3, v5
	v_mul_lo_u32 v5, v3, v5
	v_mul_hi_u32 v10, v3, v4
	v_mul_lo_u32 v4, v3, v4
	v_add_co_u32 v6, vcc_lo, v6, v7
	v_add_co_ci_u32_e32 v7, vcc_lo, 0, v8, vcc_lo
	s_delay_alu instid0(VALU_DEP_2) | instskip(NEXT) | instid1(VALU_DEP_2)
	v_add_co_u32 v5, vcc_lo, v6, v5
	v_add_co_ci_u32_e32 v5, vcc_lo, v7, v9, vcc_lo
	v_add_co_ci_u32_e32 v6, vcc_lo, 0, v10, vcc_lo
	s_delay_alu instid0(VALU_DEP_2) | instskip(NEXT) | instid1(VALU_DEP_2)
	v_add_co_u32 v4, vcc_lo, v5, v4
	v_add_co_ci_u32_e32 v5, vcc_lo, 0, v6, vcc_lo
	s_delay_alu instid0(VALU_DEP_2) | instskip(NEXT) | instid1(VALU_DEP_2)
	v_add_co_u32 v6, vcc_lo, v2, v4
	v_add_co_ci_u32_e32 v8, vcc_lo, v3, v5, vcc_lo
	s_delay_alu instid0(VALU_DEP_2) | instskip(SKIP_1) | instid1(VALU_DEP_3)
	v_mul_hi_u32 v9, v0, v6
	v_mad_u64_u32 v[4:5], null, v1, v6, 0
	v_mad_u64_u32 v[2:3], null, v0, v8, 0
	;; [unrolled: 1-line block ×3, first 2 shown]
	s_delay_alu instid0(VALU_DEP_2) | instskip(NEXT) | instid1(VALU_DEP_3)
	v_add_co_u32 v2, vcc_lo, v9, v2
	v_add_co_ci_u32_e32 v3, vcc_lo, 0, v3, vcc_lo
	s_delay_alu instid0(VALU_DEP_2) | instskip(NEXT) | instid1(VALU_DEP_2)
	v_add_co_u32 v2, vcc_lo, v2, v4
	v_add_co_ci_u32_e32 v2, vcc_lo, v3, v5, vcc_lo
	v_add_co_ci_u32_e32 v3, vcc_lo, 0, v7, vcc_lo
	s_delay_alu instid0(VALU_DEP_2) | instskip(NEXT) | instid1(VALU_DEP_2)
	v_add_co_u32 v4, vcc_lo, v2, v6
	v_add_co_ci_u32_e32 v5, vcc_lo, 0, v3, vcc_lo
	s_delay_alu instid0(VALU_DEP_2) | instskip(SKIP_1) | instid1(VALU_DEP_3)
	v_mul_lo_u32 v6, s9, v4
	v_mad_u64_u32 v[2:3], null, s8, v4, 0
	v_mul_lo_u32 v7, s8, v5
	s_delay_alu instid0(VALU_DEP_2) | instskip(NEXT) | instid1(VALU_DEP_2)
	v_sub_co_u32 v2, vcc_lo, v0, v2
	v_add3_u32 v3, v3, v7, v6
	s_delay_alu instid0(VALU_DEP_1) | instskip(NEXT) | instid1(VALU_DEP_1)
	v_sub_nc_u32_e32 v6, v1, v3
	v_subrev_co_ci_u32_e64 v6, s0, s9, v6, vcc_lo
	v_add_co_u32 v7, s0, v4, 2
	s_delay_alu instid0(VALU_DEP_1) | instskip(SKIP_3) | instid1(VALU_DEP_3)
	v_add_co_ci_u32_e64 v8, s0, 0, v5, s0
	v_sub_co_u32 v9, s0, v2, s8
	v_sub_co_ci_u32_e32 v3, vcc_lo, v1, v3, vcc_lo
	v_subrev_co_ci_u32_e64 v6, s0, 0, v6, s0
	v_cmp_le_u32_e32 vcc_lo, s8, v9
	s_delay_alu instid0(VALU_DEP_3) | instskip(SKIP_1) | instid1(VALU_DEP_4)
	v_cmp_eq_u32_e64 s0, s9, v3
	v_cndmask_b32_e64 v9, 0, -1, vcc_lo
	v_cmp_le_u32_e32 vcc_lo, s9, v6
	v_cndmask_b32_e64 v10, 0, -1, vcc_lo
	v_cmp_le_u32_e32 vcc_lo, s8, v2
	;; [unrolled: 2-line block ×3, first 2 shown]
	v_cndmask_b32_e64 v11, 0, -1, vcc_lo
	v_cmp_eq_u32_e32 vcc_lo, s9, v6
	s_delay_alu instid0(VALU_DEP_2) | instskip(SKIP_3) | instid1(VALU_DEP_3)
	v_cndmask_b32_e64 v2, v11, v2, s0
	v_cndmask_b32_e32 v6, v10, v9, vcc_lo
	v_add_co_u32 v9, vcc_lo, v4, 1
	v_add_co_ci_u32_e32 v10, vcc_lo, 0, v5, vcc_lo
	v_cmp_ne_u32_e32 vcc_lo, 0, v6
	s_delay_alu instid0(VALU_DEP_2) | instskip(SKIP_1) | instid1(VALU_DEP_2)
	v_dual_cndmask_b32 v3, v10, v8 :: v_dual_cndmask_b32 v6, v9, v7
	v_cmp_ne_u32_e32 vcc_lo, 0, v2
	v_dual_cndmask_b32 v3, v5, v3 :: v_dual_cndmask_b32 v2, v4, v6
.LBB15_3:
	s_and_not1_saveexec_b32 s0, s1
	s_cbranch_execz .LBB15_5
; %bb.4:
	v_cvt_f32_u32_e32 v2, s8
	s_sub_i32 s1, 0, s8
	s_delay_alu instid0(VALU_DEP_1) | instskip(SKIP_2) | instid1(VALU_DEP_1)
	v_rcp_iflag_f32_e32 v2, v2
	s_waitcnt_depctr 0xfff
	v_mul_f32_e32 v2, 0x4f7ffffe, v2
	v_cvt_u32_f32_e32 v2, v2
	s_delay_alu instid0(VALU_DEP_1) | instskip(NEXT) | instid1(VALU_DEP_1)
	v_mul_lo_u32 v3, s1, v2
	v_mul_hi_u32 v3, v2, v3
	s_delay_alu instid0(VALU_DEP_1) | instskip(NEXT) | instid1(VALU_DEP_1)
	v_add_nc_u32_e32 v2, v2, v3
	v_mul_hi_u32 v2, v0, v2
	s_delay_alu instid0(VALU_DEP_1) | instskip(SKIP_1) | instid1(VALU_DEP_2)
	v_mul_lo_u32 v3, v2, s8
	v_add_nc_u32_e32 v4, 1, v2
	v_sub_nc_u32_e32 v3, v0, v3
	s_delay_alu instid0(VALU_DEP_1) | instskip(SKIP_1) | instid1(VALU_DEP_2)
	v_subrev_nc_u32_e32 v5, s8, v3
	v_cmp_le_u32_e32 vcc_lo, s8, v3
	v_dual_cndmask_b32 v3, v3, v5 :: v_dual_cndmask_b32 v2, v2, v4
	s_delay_alu instid0(VALU_DEP_1) | instskip(NEXT) | instid1(VALU_DEP_2)
	v_cmp_le_u32_e32 vcc_lo, s8, v3
	v_dual_mov_b32 v3, 0 :: v_dual_add_nc_u32 v4, 1, v2
	s_delay_alu instid0(VALU_DEP_1)
	v_cndmask_b32_e32 v2, v2, v4, vcc_lo
.LBB15_5:
	s_or_b32 exec_lo, exec_lo, s0
	s_delay_alu instid0(VALU_DEP_1) | instskip(NEXT) | instid1(VALU_DEP_2)
	v_mul_lo_u32 v6, v3, s8
	v_mul_lo_u32 v7, v2, s9
	v_mad_u64_u32 v[4:5], null, v2, s8, 0
	s_delay_alu instid0(VALU_DEP_1) | instskip(NEXT) | instid1(VALU_DEP_2)
	v_add3_u32 v5, v5, v7, v6
	v_sub_co_u32 v6, vcc_lo, v0, v4
	v_mov_b32_e32 v4, 0
	s_delay_alu instid0(VALU_DEP_3) | instskip(NEXT) | instid1(VALU_DEP_1)
	v_sub_co_ci_u32_e32 v7, vcc_lo, v1, v5, vcc_lo
	v_or_b32_e32 v5, s11, v7
	s_delay_alu instid0(VALU_DEP_1) | instskip(SKIP_1) | instid1(SALU_CYCLE_1)
	v_cmp_ne_u64_e32 vcc_lo, 0, v[4:5]
                                        ; implicit-def: $vgpr4_vgpr5
	s_and_saveexec_b32 s0, vcc_lo
	s_xor_b32 s1, exec_lo, s0
	s_cbranch_execz .LBB15_7
; %bb.6:
	v_cvt_f32_u32_e32 v4, s10
	v_cvt_f32_u32_e32 v5, s11
	s_sub_u32 s0, 0, s10
	s_subb_u32 s2, 0, s11
	s_delay_alu instid0(VALU_DEP_1) | instskip(NEXT) | instid1(VALU_DEP_1)
	v_fmamk_f32 v4, v5, 0x4f800000, v4
	v_rcp_f32_e32 v4, v4
	s_waitcnt_depctr 0xfff
	v_mul_f32_e32 v4, 0x5f7ffffc, v4
	s_delay_alu instid0(VALU_DEP_1) | instskip(NEXT) | instid1(VALU_DEP_1)
	v_mul_f32_e32 v5, 0x2f800000, v4
	v_trunc_f32_e32 v5, v5
	s_delay_alu instid0(VALU_DEP_1) | instskip(SKIP_1) | instid1(VALU_DEP_2)
	v_fmamk_f32 v4, v5, 0xcf800000, v4
	v_cvt_u32_f32_e32 v5, v5
	v_cvt_u32_f32_e32 v4, v4
	s_delay_alu instid0(VALU_DEP_2) | instskip(NEXT) | instid1(VALU_DEP_2)
	v_mul_lo_u32 v8, s0, v5
	v_mul_hi_u32 v9, s0, v4
	v_mul_lo_u32 v10, s2, v4
	s_delay_alu instid0(VALU_DEP_2) | instskip(SKIP_1) | instid1(VALU_DEP_2)
	v_add_nc_u32_e32 v8, v9, v8
	v_mul_lo_u32 v9, s0, v4
	v_add_nc_u32_e32 v8, v8, v10
	s_delay_alu instid0(VALU_DEP_2) | instskip(NEXT) | instid1(VALU_DEP_2)
	v_mul_hi_u32 v10, v4, v9
	v_mul_lo_u32 v11, v4, v8
	v_mul_hi_u32 v12, v4, v8
	v_mul_hi_u32 v13, v5, v9
	v_mul_lo_u32 v9, v5, v9
	v_mul_hi_u32 v14, v5, v8
	v_mul_lo_u32 v8, v5, v8
	v_add_co_u32 v10, vcc_lo, v10, v11
	v_add_co_ci_u32_e32 v11, vcc_lo, 0, v12, vcc_lo
	s_delay_alu instid0(VALU_DEP_2) | instskip(NEXT) | instid1(VALU_DEP_2)
	v_add_co_u32 v9, vcc_lo, v10, v9
	v_add_co_ci_u32_e32 v9, vcc_lo, v11, v13, vcc_lo
	v_add_co_ci_u32_e32 v10, vcc_lo, 0, v14, vcc_lo
	s_delay_alu instid0(VALU_DEP_2) | instskip(NEXT) | instid1(VALU_DEP_2)
	v_add_co_u32 v8, vcc_lo, v9, v8
	v_add_co_ci_u32_e32 v9, vcc_lo, 0, v10, vcc_lo
	s_delay_alu instid0(VALU_DEP_2) | instskip(NEXT) | instid1(VALU_DEP_2)
	v_add_co_u32 v4, vcc_lo, v4, v8
	v_add_co_ci_u32_e32 v5, vcc_lo, v5, v9, vcc_lo
	s_delay_alu instid0(VALU_DEP_2) | instskip(SKIP_1) | instid1(VALU_DEP_3)
	v_mul_hi_u32 v8, s0, v4
	v_mul_lo_u32 v10, s2, v4
	v_mul_lo_u32 v9, s0, v5
	s_delay_alu instid0(VALU_DEP_1) | instskip(SKIP_1) | instid1(VALU_DEP_2)
	v_add_nc_u32_e32 v8, v8, v9
	v_mul_lo_u32 v9, s0, v4
	v_add_nc_u32_e32 v8, v8, v10
	s_delay_alu instid0(VALU_DEP_2) | instskip(NEXT) | instid1(VALU_DEP_2)
	v_mul_hi_u32 v10, v4, v9
	v_mul_lo_u32 v11, v4, v8
	v_mul_hi_u32 v12, v4, v8
	v_mul_hi_u32 v13, v5, v9
	v_mul_lo_u32 v9, v5, v9
	v_mul_hi_u32 v14, v5, v8
	v_mul_lo_u32 v8, v5, v8
	v_add_co_u32 v10, vcc_lo, v10, v11
	v_add_co_ci_u32_e32 v11, vcc_lo, 0, v12, vcc_lo
	s_delay_alu instid0(VALU_DEP_2) | instskip(NEXT) | instid1(VALU_DEP_2)
	v_add_co_u32 v9, vcc_lo, v10, v9
	v_add_co_ci_u32_e32 v9, vcc_lo, v11, v13, vcc_lo
	v_add_co_ci_u32_e32 v10, vcc_lo, 0, v14, vcc_lo
	s_delay_alu instid0(VALU_DEP_2) | instskip(NEXT) | instid1(VALU_DEP_2)
	v_add_co_u32 v8, vcc_lo, v9, v8
	v_add_co_ci_u32_e32 v9, vcc_lo, 0, v10, vcc_lo
	s_delay_alu instid0(VALU_DEP_2) | instskip(NEXT) | instid1(VALU_DEP_2)
	v_add_co_u32 v10, vcc_lo, v4, v8
	v_add_co_ci_u32_e32 v12, vcc_lo, v5, v9, vcc_lo
	s_delay_alu instid0(VALU_DEP_2) | instskip(SKIP_1) | instid1(VALU_DEP_3)
	v_mul_hi_u32 v13, v6, v10
	v_mad_u64_u32 v[8:9], null, v7, v10, 0
	v_mad_u64_u32 v[4:5], null, v6, v12, 0
	;; [unrolled: 1-line block ×3, first 2 shown]
	s_delay_alu instid0(VALU_DEP_2) | instskip(NEXT) | instid1(VALU_DEP_3)
	v_add_co_u32 v4, vcc_lo, v13, v4
	v_add_co_ci_u32_e32 v5, vcc_lo, 0, v5, vcc_lo
	s_delay_alu instid0(VALU_DEP_2) | instskip(NEXT) | instid1(VALU_DEP_2)
	v_add_co_u32 v4, vcc_lo, v4, v8
	v_add_co_ci_u32_e32 v4, vcc_lo, v5, v9, vcc_lo
	v_add_co_ci_u32_e32 v5, vcc_lo, 0, v11, vcc_lo
	s_delay_alu instid0(VALU_DEP_2) | instskip(NEXT) | instid1(VALU_DEP_2)
	v_add_co_u32 v8, vcc_lo, v4, v10
	v_add_co_ci_u32_e32 v9, vcc_lo, 0, v5, vcc_lo
	s_delay_alu instid0(VALU_DEP_2) | instskip(SKIP_1) | instid1(VALU_DEP_3)
	v_mul_lo_u32 v10, s11, v8
	v_mad_u64_u32 v[4:5], null, s10, v8, 0
	v_mul_lo_u32 v11, s10, v9
	s_delay_alu instid0(VALU_DEP_2) | instskip(NEXT) | instid1(VALU_DEP_2)
	v_sub_co_u32 v4, vcc_lo, v6, v4
	v_add3_u32 v5, v5, v11, v10
	s_delay_alu instid0(VALU_DEP_1) | instskip(NEXT) | instid1(VALU_DEP_1)
	v_sub_nc_u32_e32 v10, v7, v5
	v_subrev_co_ci_u32_e64 v10, s0, s11, v10, vcc_lo
	v_add_co_u32 v11, s0, v8, 2
	s_delay_alu instid0(VALU_DEP_1) | instskip(SKIP_3) | instid1(VALU_DEP_3)
	v_add_co_ci_u32_e64 v12, s0, 0, v9, s0
	v_sub_co_u32 v13, s0, v4, s10
	v_sub_co_ci_u32_e32 v5, vcc_lo, v7, v5, vcc_lo
	v_subrev_co_ci_u32_e64 v10, s0, 0, v10, s0
	v_cmp_le_u32_e32 vcc_lo, s10, v13
	s_delay_alu instid0(VALU_DEP_3) | instskip(SKIP_1) | instid1(VALU_DEP_4)
	v_cmp_eq_u32_e64 s0, s11, v5
	v_cndmask_b32_e64 v13, 0, -1, vcc_lo
	v_cmp_le_u32_e32 vcc_lo, s11, v10
	v_cndmask_b32_e64 v14, 0, -1, vcc_lo
	v_cmp_le_u32_e32 vcc_lo, s10, v4
	;; [unrolled: 2-line block ×3, first 2 shown]
	v_cndmask_b32_e64 v15, 0, -1, vcc_lo
	v_cmp_eq_u32_e32 vcc_lo, s11, v10
	s_delay_alu instid0(VALU_DEP_2) | instskip(SKIP_3) | instid1(VALU_DEP_3)
	v_cndmask_b32_e64 v4, v15, v4, s0
	v_cndmask_b32_e32 v10, v14, v13, vcc_lo
	v_add_co_u32 v13, vcc_lo, v8, 1
	v_add_co_ci_u32_e32 v14, vcc_lo, 0, v9, vcc_lo
	v_cmp_ne_u32_e32 vcc_lo, 0, v10
	s_delay_alu instid0(VALU_DEP_2) | instskip(SKIP_1) | instid1(VALU_DEP_2)
	v_dual_cndmask_b32 v5, v14, v12 :: v_dual_cndmask_b32 v10, v13, v11
	v_cmp_ne_u32_e32 vcc_lo, 0, v4
	v_dual_cndmask_b32 v5, v9, v5 :: v_dual_cndmask_b32 v4, v8, v10
.LBB15_7:
	s_and_not1_saveexec_b32 s0, s1
	s_cbranch_execz .LBB15_9
; %bb.8:
	v_cvt_f32_u32_e32 v4, s10
	s_sub_i32 s1, 0, s10
	s_delay_alu instid0(VALU_DEP_1) | instskip(SKIP_2) | instid1(VALU_DEP_1)
	v_rcp_iflag_f32_e32 v4, v4
	s_waitcnt_depctr 0xfff
	v_mul_f32_e32 v4, 0x4f7ffffe, v4
	v_cvt_u32_f32_e32 v4, v4
	s_delay_alu instid0(VALU_DEP_1) | instskip(NEXT) | instid1(VALU_DEP_1)
	v_mul_lo_u32 v5, s1, v4
	v_mul_hi_u32 v5, v4, v5
	s_delay_alu instid0(VALU_DEP_1) | instskip(NEXT) | instid1(VALU_DEP_1)
	v_add_nc_u32_e32 v4, v4, v5
	v_mul_hi_u32 v4, v6, v4
	s_delay_alu instid0(VALU_DEP_1) | instskip(SKIP_1) | instid1(VALU_DEP_2)
	v_mul_lo_u32 v5, v4, s10
	v_add_nc_u32_e32 v8, 1, v4
	v_sub_nc_u32_e32 v5, v6, v5
	s_delay_alu instid0(VALU_DEP_1) | instskip(SKIP_1) | instid1(VALU_DEP_2)
	v_subrev_nc_u32_e32 v9, s10, v5
	v_cmp_le_u32_e32 vcc_lo, s10, v5
	v_dual_cndmask_b32 v5, v5, v9 :: v_dual_cndmask_b32 v4, v4, v8
	s_delay_alu instid0(VALU_DEP_1) | instskip(NEXT) | instid1(VALU_DEP_2)
	v_cmp_le_u32_e32 vcc_lo, s10, v5
	v_dual_mov_b32 v5, 0 :: v_dual_add_nc_u32 v8, 1, v4
	s_delay_alu instid0(VALU_DEP_1)
	v_cndmask_b32_e32 v4, v4, v8, vcc_lo
.LBB15_9:
	s_or_b32 exec_lo, exec_lo, s0
	s_delay_alu instid0(VALU_DEP_1) | instskip(NEXT) | instid1(VALU_DEP_2)
	v_mul_lo_u32 v12, v5, s10
	v_mul_lo_u32 v13, v4, s11
	v_mad_u64_u32 v[8:9], null, v4, s10, 0
	v_mad_u64_u32 v[10:11], null, v2, s6, v[4:5]
	v_mul_lo_u32 v2, v2, s7
	v_mul_lo_u32 v3, v3, s6
	s_delay_alu instid0(VALU_DEP_4) | instskip(NEXT) | instid1(VALU_DEP_2)
	v_add3_u32 v4, v9, v13, v12
	v_add3_u32 v5, v3, v11, v2
	v_sub_co_u32 v2, vcc_lo, v6, v8
	s_delay_alu instid0(VALU_DEP_3) | instskip(SKIP_1) | instid1(VALU_DEP_4)
	v_sub_co_ci_u32_e32 v3, vcc_lo, v7, v4, vcc_lo
	v_mul_lo_u32 v6, v10, s5
	v_mul_lo_u32 v7, v5, s4
                                        ; implicit-def: $vgpr8
	s_delay_alu instid0(VALU_DEP_3) | instskip(NEXT) | instid1(VALU_DEP_1)
	v_mad_u64_u32 v[4:5], null, v10, s4, v[2:3]
	v_add3_u32 v5, v7, v5, v6
	s_delay_alu instid0(VALU_DEP_2) | instskip(NEXT) | instid1(VALU_DEP_2)
	v_cvt_f64_u32_e32 v[6:7], v4
	v_cvt_f64_u32_e32 v[2:3], v5
	v_cmp_lt_u64_e32 vcc_lo, 0x3fffffff, v[4:5]
                                        ; implicit-def: $vgpr4_vgpr5
	s_delay_alu instid0(VALU_DEP_2) | instskip(NEXT) | instid1(VALU_DEP_1)
	v_ldexp_f64 v[2:3], v[2:3], 32
	v_add_f64 v[6:7], v[2:3], v[6:7]
                                        ; implicit-def: $vgpr2_vgpr3
	s_and_saveexec_b32 s0, vcc_lo
	s_delay_alu instid0(SALU_CYCLE_1)
	s_xor_b32 s1, exec_lo, s0
	s_cbranch_execz .LBB15_11
; %bb.10:
	s_delay_alu instid0(VALU_DEP_1)
	v_trig_preop_f64 v[2:3], v[6:7], 0
	v_trig_preop_f64 v[4:5], v[6:7], 1
	;; [unrolled: 1-line block ×3, first 2 shown]
	v_mov_b32_e32 v24, 0
	s_mov_b32 s2, 0x54442d18
	s_mov_b32 s3, 0x3ff921fb
	;; [unrolled: 1-line block ×4, first 2 shown]
	s_delay_alu instid0(VALU_DEP_4) | instskip(NEXT) | instid1(VALU_DEP_4)
	v_mul_f64 v[8:9], v[2:3], v[6:7]
	v_mul_f64 v[10:11], v[4:5], v[6:7]
	s_delay_alu instid0(VALU_DEP_4) | instskip(NEXT) | instid1(VALU_DEP_3)
	v_mul_f64 v[22:23], v[16:17], v[6:7]
	v_fma_f64 v[2:3], v[2:3], v[6:7], -v[8:9]
	s_delay_alu instid0(VALU_DEP_3) | instskip(NEXT) | instid1(VALU_DEP_3)
	v_fma_f64 v[4:5], v[4:5], v[6:7], -v[10:11]
	v_fma_f64 v[6:7], v[16:17], v[6:7], -v[22:23]
	s_delay_alu instid0(VALU_DEP_3) | instskip(NEXT) | instid1(VALU_DEP_1)
	v_add_f64 v[12:13], v[10:11], v[2:3]
	v_add_f64 v[14:15], v[12:13], -v[10:11]
	v_add_f64 v[20:21], v[8:9], v[12:13]
	s_delay_alu instid0(VALU_DEP_2) | instskip(SKIP_1) | instid1(VALU_DEP_3)
	v_add_f64 v[18:19], v[12:13], -v[14:15]
	v_add_f64 v[2:3], v[2:3], -v[14:15]
	v_ldexp_f64 v[14:15], v[20:21], -2
	v_add_f64 v[8:9], v[20:21], -v[8:9]
	s_delay_alu instid0(VALU_DEP_4) | instskip(SKIP_1) | instid1(VALU_DEP_4)
	v_add_f64 v[10:11], v[10:11], -v[18:19]
	v_add_f64 v[18:19], v[22:23], v[4:5]
	v_cmp_neq_f64_e64 vcc_lo, 0x7ff00000, |v[14:15]|
	s_delay_alu instid0(VALU_DEP_4) | instskip(NEXT) | instid1(VALU_DEP_4)
	v_add_f64 v[8:9], v[12:13], -v[8:9]
	v_add_f64 v[2:3], v[2:3], v[10:11]
	v_fract_f64_e32 v[10:11], v[14:15]
	s_delay_alu instid0(VALU_DEP_2) | instskip(NEXT) | instid1(VALU_DEP_2)
	v_add_f64 v[12:13], v[18:19], v[2:3]
	v_dual_cndmask_b32 v11, 0, v11 :: v_dual_cndmask_b32 v10, 0, v10
	s_delay_alu instid0(VALU_DEP_1) | instskip(NEXT) | instid1(VALU_DEP_3)
	v_ldexp_f64 v[10:11], v[10:11], 2
	v_add_f64 v[14:15], v[8:9], v[12:13]
	s_delay_alu instid0(VALU_DEP_1) | instskip(SKIP_1) | instid1(VALU_DEP_2)
	v_add_f64 v[20:21], v[14:15], v[10:11]
	v_add_f64 v[8:9], v[14:15], -v[8:9]
	v_cmp_gt_f64_e32 vcc_lo, 0, v[20:21]
	v_add_f64 v[20:21], v[18:19], -v[22:23]
	s_delay_alu instid0(VALU_DEP_3) | instskip(SKIP_1) | instid1(VALU_DEP_3)
	v_add_f64 v[8:9], v[12:13], -v[8:9]
	v_cndmask_b32_e64 v25, 0, 0x40100000, vcc_lo
	v_add_f64 v[29:30], v[18:19], -v[20:21]
	v_add_f64 v[4:5], v[4:5], -v[20:21]
	s_delay_alu instid0(VALU_DEP_3) | instskip(SKIP_1) | instid1(VALU_DEP_4)
	v_add_f64 v[10:11], v[10:11], v[24:25]
	v_add_f64 v[25:26], v[12:13], -v[18:19]
	v_add_f64 v[20:21], v[22:23], -v[29:30]
	s_delay_alu instid0(VALU_DEP_3) | instskip(NEXT) | instid1(VALU_DEP_3)
	v_add_f64 v[27:28], v[14:15], v[10:11]
	v_add_f64 v[31:32], v[12:13], -v[25:26]
	v_add_f64 v[2:3], v[2:3], -v[25:26]
	s_delay_alu instid0(VALU_DEP_4) | instskip(NEXT) | instid1(VALU_DEP_4)
	v_add_f64 v[4:5], v[4:5], v[20:21]
	v_cvt_i32_f64_e32 v27, v[27:28]
	s_delay_alu instid0(VALU_DEP_4) | instskip(NEXT) | instid1(VALU_DEP_2)
	v_add_f64 v[18:19], v[18:19], -v[31:32]
	v_cvt_f64_i32_e32 v[25:26], v27
	s_delay_alu instid0(VALU_DEP_2) | instskip(NEXT) | instid1(VALU_DEP_2)
	v_add_f64 v[2:3], v[2:3], v[18:19]
	v_add_f64 v[10:11], v[10:11], -v[25:26]
	s_delay_alu instid0(VALU_DEP_2) | instskip(NEXT) | instid1(VALU_DEP_2)
	v_add_f64 v[2:3], v[4:5], v[2:3]
	v_add_f64 v[4:5], v[14:15], v[10:11]
	s_delay_alu instid0(VALU_DEP_2) | instskip(NEXT) | instid1(VALU_DEP_2)
	v_add_f64 v[2:3], v[6:7], v[2:3]
	v_add_f64 v[6:7], v[4:5], -v[10:11]
	v_cmp_le_f64_e32 vcc_lo, 0.5, v[4:5]
	s_delay_alu instid0(VALU_DEP_3) | instskip(NEXT) | instid1(VALU_DEP_3)
	v_add_f64 v[2:3], v[8:9], v[2:3]
	v_add_f64 v[6:7], v[14:15], -v[6:7]
	v_cndmask_b32_e64 v25, 0, 0x3ff00000, vcc_lo
	v_add_co_ci_u32_e64 v8, s0, 0, v27, vcc_lo
	s_delay_alu instid0(VALU_DEP_2) | instskip(NEXT) | instid1(VALU_DEP_4)
	v_add_f64 v[4:5], v[4:5], -v[24:25]
	v_add_f64 v[2:3], v[2:3], v[6:7]
	s_delay_alu instid0(VALU_DEP_1) | instskip(NEXT) | instid1(VALU_DEP_1)
	v_add_f64 v[6:7], v[4:5], v[2:3]
	v_mul_f64 v[9:10], v[6:7], s[2:3]
	v_add_f64 v[4:5], v[6:7], -v[4:5]
	s_delay_alu instid0(VALU_DEP_2) | instskip(NEXT) | instid1(VALU_DEP_2)
	v_fma_f64 v[11:12], v[6:7], s[2:3], -v[9:10]
	v_add_f64 v[2:3], v[2:3], -v[4:5]
	s_delay_alu instid0(VALU_DEP_2) | instskip(NEXT) | instid1(VALU_DEP_1)
	v_fma_f64 v[4:5], v[6:7], s[4:5], v[11:12]
	v_fma_f64 v[4:5], v[2:3], s[2:3], v[4:5]
	s_delay_alu instid0(VALU_DEP_1) | instskip(NEXT) | instid1(VALU_DEP_1)
	v_add_f64 v[2:3], v[9:10], v[4:5]
	v_add_f64 v[6:7], v[2:3], -v[9:10]
	s_delay_alu instid0(VALU_DEP_1)
	v_add_f64 v[4:5], v[4:5], -v[6:7]
                                        ; implicit-def: $vgpr6_vgpr7
.LBB15_11:
	s_and_not1_saveexec_b32 s0, s1
	s_cbranch_execz .LBB15_13
; %bb.12:
	s_mov_b32 s2, 0x6dc9c883
	s_mov_b32 s3, 0x3fe45f30
	;; [unrolled: 1-line block ×3, first 2 shown]
	s_delay_alu instid0(VALU_DEP_1) | instskip(SKIP_3) | instid1(VALU_DEP_1)
	v_mul_f64 v[2:3], v[6:7], s[2:3]
	s_mov_b32 s2, 0x54442d18
	s_mov_b32 s3, 0xbff921fb
	;; [unrolled: 1-line block ×3, first 2 shown]
	v_rndne_f64_e32 v[8:9], v[2:3]
	s_delay_alu instid0(VALU_DEP_1) | instskip(SKIP_3) | instid1(VALU_DEP_2)
	v_fma_f64 v[2:3], v[8:9], s[2:3], v[6:7]
	v_mul_f64 v[4:5], v[8:9], s[4:5]
	s_mov_b32 s2, 0x252049c0
	s_mov_b32 s3, 0xb97b839a
	v_fma_f64 v[10:11], v[8:9], s[4:5], v[2:3]
	s_delay_alu instid0(VALU_DEP_2) | instskip(SKIP_1) | instid1(VALU_DEP_1)
	v_add_f64 v[6:7], v[2:3], v[4:5]
	s_mov_b32 s5, 0x3c91a626
	v_add_f64 v[2:3], v[2:3], -v[6:7]
	s_delay_alu instid0(VALU_DEP_3) | instskip(NEXT) | instid1(VALU_DEP_2)
	v_add_f64 v[6:7], v[6:7], -v[10:11]
	v_add_f64 v[2:3], v[2:3], v[4:5]
	v_fma_f64 v[4:5], v[8:9], s[4:5], v[4:5]
	s_delay_alu instid0(VALU_DEP_2) | instskip(NEXT) | instid1(VALU_DEP_1)
	v_add_f64 v[2:3], v[6:7], v[2:3]
	v_add_f64 v[2:3], v[2:3], -v[4:5]
	s_delay_alu instid0(VALU_DEP_1) | instskip(SKIP_1) | instid1(VALU_DEP_2)
	v_fma_f64 v[4:5], v[8:9], s[2:3], v[2:3]
	v_cvt_i32_f64_e32 v8, v[8:9]
	v_add_f64 v[2:3], v[10:11], v[4:5]
	s_delay_alu instid0(VALU_DEP_1) | instskip(NEXT) | instid1(VALU_DEP_1)
	v_add_f64 v[6:7], v[2:3], -v[10:11]
	v_add_f64 v[4:5], v[4:5], -v[6:7]
.LBB15_13:
	s_or_b32 exec_lo, exec_lo, s0
	v_mul_f64 v[6:7], v[2:3], v[2:3]
	s_mov_b32 s0, 0xb42fdfa7
	s_mov_b32 s2, 0xf9a43bb8
	;; [unrolled: 1-line block ×4, first 2 shown]
	s_delay_alu instid0(VALU_DEP_2) | instskip(SKIP_1) | instid1(VALU_DEP_3)
	v_mul_f64 v[17:18], v[4:5], 0.5
	v_lshlrev_b64 v[0:1], 3, v[0:1]
	v_fma_f64 v[9:10], v[6:7], s[2:3], s[0:1]
	s_mov_b32 s0, 0x796cde01
	s_mov_b32 s1, 0x3ec71de3
	;; [unrolled: 1-line block ×4, first 2 shown]
	v_mul_f64 v[13:14], v[6:7], 0.5
	v_mul_f64 v[19:20], v[2:3], -v[6:7]
	s_delay_alu instid0(VALU_DEP_3) | instskip(SKIP_2) | instid1(SALU_CYCLE_1)
	v_fma_f64 v[9:10], v[6:7], v[9:10], s[0:1]
	s_mov_b32 s0, 0x46cc5e42
	s_mov_b32 s1, 0xbda907db
	v_fma_f64 v[11:12], v[6:7], s[0:1], s[2:3]
	s_mov_b32 s0, 0x19e83e5c
	s_mov_b32 s1, 0xbf2a01a0
	s_delay_alu instid0(VALU_DEP_4) | instskip(NEXT) | instid1(VALU_DEP_3)
	v_add_f64 v[15:16], -v[13:14], 1.0
	v_fma_f64 v[9:10], v[6:7], v[9:10], s[0:1]
	s_mov_b32 s0, 0xa17f65f6
	s_mov_b32 s1, 0xbe927e4f
	s_delay_alu instid0(VALU_DEP_3) | instid1(SALU_CYCLE_1)
	v_fma_f64 v[11:12], v[6:7], v[11:12], s[0:1]
	s_mov_b32 s0, 0x11110bb3
	s_mov_b32 s1, 0x3f811111
	s_delay_alu instid0(VALU_DEP_3) | instskip(NEXT) | instid1(VALU_DEP_3)
	v_add_f64 v[21:22], -v[15:16], 1.0
	v_fma_f64 v[9:10], v[6:7], v[9:10], s[0:1]
	s_mov_b32 s0, 0x19f4ec90
	s_mov_b32 s1, 0x3efa01a0
	s_delay_alu instid0(VALU_DEP_3) | instid1(SALU_CYCLE_1)
	v_fma_f64 v[11:12], v[6:7], v[11:12], s[0:1]
	s_mov_b32 s0, 0x16c16967
	s_mov_b32 s1, 0xbf56c16c
	s_delay_alu instid0(VALU_DEP_3) | instskip(NEXT) | instid1(VALU_DEP_3)
	v_add_f64 v[13:14], v[21:22], -v[13:14]
	v_fma_f64 v[9:10], v[19:20], v[9:10], v[17:18]
	v_mul_f64 v[17:18], v[6:7], v[6:7]
	s_delay_alu instid0(VALU_DEP_4) | instskip(SKIP_2) | instid1(VALU_DEP_3)
	v_fma_f64 v[11:12], v[6:7], v[11:12], s[0:1]
	s_mov_b32 s1, 0x3fa55555
	s_mov_b32 s0, 0x55555555
	v_fma_f64 v[9:10], v[6:7], v[9:10], -v[4:5]
	v_fma_f64 v[4:5], v[2:3], -v[4:5], v[13:14]
	s_delay_alu instid0(VALU_DEP_3)
	v_fma_f64 v[6:7], v[6:7], v[11:12], s[0:1]
	s_mov_b32 s1, 0xbfc55555
	s_delay_alu instid0(VALU_DEP_3) | instid1(SALU_CYCLE_1)
	v_fma_f64 v[9:10], v[19:20], s[0:1], v[9:10]
	s_delay_alu instid0(VALU_DEP_2) | instskip(SKIP_1) | instid1(VALU_DEP_3)
	v_fma_f64 v[4:5], v[17:18], v[6:7], v[4:5]
	v_lshlrev_b32_e32 v7, 30, v8
	v_add_f64 v[2:3], v[2:3], -v[9:10]
	s_delay_alu instid0(VALU_DEP_3) | instskip(NEXT) | instid1(VALU_DEP_2)
	v_add_f64 v[4:5], v[15:16], v[4:5]
	v_xor_b32_e32 v3, 0x80000000, v3
	v_and_b32_e32 v6, 1, v8
	s_delay_alu instid0(VALU_DEP_1) | instskip(NEXT) | instid1(VALU_DEP_3)
	v_cmp_eq_u32_e32 vcc_lo, 0, v6
	v_dual_cndmask_b32 v3, v3, v5 :: v_dual_and_b32 v6, 0x80000000, v7
	v_cndmask_b32_e32 v2, v2, v4, vcc_lo
	v_add_co_u32 v0, vcc_lo, s16, v0
	v_add_co_ci_u32_e32 v1, vcc_lo, s17, v1, vcc_lo
	s_delay_alu instid0(VALU_DEP_4)
	v_xor_b32_e32 v3, v3, v6
	global_store_b64 v[0:1], v[2:3], off
.LBB15_14:
	s_nop 0
	s_sendmsg sendmsg(MSG_DEALLOC_VGPRS)
	s_endpgm
	.section	.rodata,"a",@progbits
	.p2align	6, 0x0
	.amdhsa_kernel _Z11fill_kernelIdZ21hipblaslt_init_deviceIdEv8ABC_dims24hipblaslt_initializationbPT_mmmmmEUlmE3_EvS4_mmT0_
		.amdhsa_group_segment_fixed_size 0
		.amdhsa_private_segment_fixed_size 0
		.amdhsa_kernarg_size 312
		.amdhsa_user_sgpr_count 15
		.amdhsa_user_sgpr_dispatch_ptr 0
		.amdhsa_user_sgpr_queue_ptr 0
		.amdhsa_user_sgpr_kernarg_segment_ptr 1
		.amdhsa_user_sgpr_dispatch_id 0
		.amdhsa_user_sgpr_private_segment_size 0
		.amdhsa_wavefront_size32 1
		.amdhsa_uses_dynamic_stack 0
		.amdhsa_enable_private_segment 0
		.amdhsa_system_sgpr_workgroup_id_x 1
		.amdhsa_system_sgpr_workgroup_id_y 0
		.amdhsa_system_sgpr_workgroup_id_z 0
		.amdhsa_system_sgpr_workgroup_info 0
		.amdhsa_system_vgpr_workitem_id 0
		.amdhsa_next_free_vgpr 33
		.amdhsa_next_free_sgpr 20
		.amdhsa_reserve_vcc 1
		.amdhsa_float_round_mode_32 0
		.amdhsa_float_round_mode_16_64 0
		.amdhsa_float_denorm_mode_32 3
		.amdhsa_float_denorm_mode_16_64 3
		.amdhsa_dx10_clamp 1
		.amdhsa_ieee_mode 1
		.amdhsa_fp16_overflow 0
		.amdhsa_workgroup_processor_mode 1
		.amdhsa_memory_ordered 1
		.amdhsa_forward_progress 0
		.amdhsa_shared_vgpr_count 0
		.amdhsa_exception_fp_ieee_invalid_op 0
		.amdhsa_exception_fp_denorm_src 0
		.amdhsa_exception_fp_ieee_div_zero 0
		.amdhsa_exception_fp_ieee_overflow 0
		.amdhsa_exception_fp_ieee_underflow 0
		.amdhsa_exception_fp_ieee_inexact 0
		.amdhsa_exception_int_div_zero 0
	.end_amdhsa_kernel
	.section	.text._Z11fill_kernelIdZ21hipblaslt_init_deviceIdEv8ABC_dims24hipblaslt_initializationbPT_mmmmmEUlmE3_EvS4_mmT0_,"axG",@progbits,_Z11fill_kernelIdZ21hipblaslt_init_deviceIdEv8ABC_dims24hipblaslt_initializationbPT_mmmmmEUlmE3_EvS4_mmT0_,comdat
.Lfunc_end15:
	.size	_Z11fill_kernelIdZ21hipblaslt_init_deviceIdEv8ABC_dims24hipblaslt_initializationbPT_mmmmmEUlmE3_EvS4_mmT0_, .Lfunc_end15-_Z11fill_kernelIdZ21hipblaslt_init_deviceIdEv8ABC_dims24hipblaslt_initializationbPT_mmmmmEUlmE3_EvS4_mmT0_
                                        ; -- End function
	.section	.AMDGPU.csdata,"",@progbits
; Kernel info:
; codeLenInByte = 3576
; NumSgprs: 22
; NumVgprs: 33
; ScratchSize: 0
; MemoryBound: 0
; FloatMode: 240
; IeeeMode: 1
; LDSByteSize: 0 bytes/workgroup (compile time only)
; SGPRBlocks: 2
; VGPRBlocks: 4
; NumSGPRsForWavesPerEU: 22
; NumVGPRsForWavesPerEU: 33
; Occupancy: 16
; WaveLimiterHint : 0
; COMPUTE_PGM_RSRC2:SCRATCH_EN: 0
; COMPUTE_PGM_RSRC2:USER_SGPR: 15
; COMPUTE_PGM_RSRC2:TRAP_HANDLER: 0
; COMPUTE_PGM_RSRC2:TGID_X_EN: 1
; COMPUTE_PGM_RSRC2:TGID_Y_EN: 0
; COMPUTE_PGM_RSRC2:TGID_Z_EN: 0
; COMPUTE_PGM_RSRC2:TIDIG_COMP_CNT: 0
	.section	.text._Z11fill_kernelIdZ21hipblaslt_init_deviceIdEv8ABC_dims24hipblaslt_initializationbPT_mmmmmEUlmE4_EvS4_mmT0_,"axG",@progbits,_Z11fill_kernelIdZ21hipblaslt_init_deviceIdEv8ABC_dims24hipblaslt_initializationbPT_mmmmmEUlmE4_EvS4_mmT0_,comdat
	.protected	_Z11fill_kernelIdZ21hipblaslt_init_deviceIdEv8ABC_dims24hipblaslt_initializationbPT_mmmmmEUlmE4_EvS4_mmT0_ ; -- Begin function _Z11fill_kernelIdZ21hipblaslt_init_deviceIdEv8ABC_dims24hipblaslt_initializationbPT_mmmmmEUlmE4_EvS4_mmT0_
	.globl	_Z11fill_kernelIdZ21hipblaslt_init_deviceIdEv8ABC_dims24hipblaslt_initializationbPT_mmmmmEUlmE4_EvS4_mmT0_
	.p2align	8
	.type	_Z11fill_kernelIdZ21hipblaslt_init_deviceIdEv8ABC_dims24hipblaslt_initializationbPT_mmmmmEUlmE4_EvS4_mmT0_,@function
_Z11fill_kernelIdZ21hipblaslt_init_deviceIdEv8ABC_dims24hipblaslt_initializationbPT_mmmmmEUlmE4_EvS4_mmT0_: ; @_Z11fill_kernelIdZ21hipblaslt_init_deviceIdEv8ABC_dims24hipblaslt_initializationbPT_mmmmmEUlmE4_EvS4_mmT0_
; %bb.0:
	s_clause 0x1
	s_load_b32 s2, s[0:1], 0x2c
	s_load_b128 s[4:7], s[0:1], 0x0
	s_waitcnt lgkmcnt(0)
	s_and_b32 s2, s2, 0xffff
	s_delay_alu instid0(SALU_CYCLE_1) | instskip(SKIP_2) | instid1(VALU_DEP_1)
	v_mad_u64_u32 v[1:2], null, s15, s2, v[0:1]
	v_mov_b32_e32 v2, 0
	s_mov_b32 s2, exec_lo
	v_cmpx_gt_u64_e64 s[6:7], v[1:2]
	s_cbranch_execz .LBB16_2
; %bb.1:
	s_load_b64 s[0:1], s[0:1], 0x10
	s_mov_b32 s2, 0x19660d
	s_waitcnt lgkmcnt(0)
	v_add_co_u32 v0, s0, v1, s0
	s_delay_alu instid0(VALU_DEP_1) | instskip(SKIP_1) | instid1(VALU_DEP_2)
	v_add_co_ci_u32_e64 v1, null, 0, s1, s0
	s_mov_b32 s0, 0xffe00000
	v_mad_u64_u32 v[2:3], null, v0, s2, 0x3c6ef35f
	s_mov_b32 s1, 0x41efffff
	s_delay_alu instid0(VALU_DEP_1) | instskip(SKIP_1) | instid1(VALU_DEP_2)
	v_mad_u64_u32 v[4:5], null, 0x19660d, v1, v[3:4]
	v_lshlrev_b64 v[0:1], 3, v[0:1]
	v_mov_b32_e32 v3, v4
	s_delay_alu instid0(VALU_DEP_1) | instskip(NEXT) | instid1(VALU_DEP_1)
	v_lshlrev_b64 v[4:5], 13, v[2:3]
	v_xor_b32_e32 v3, v5, v3
	s_delay_alu instid0(VALU_DEP_2) | instskip(NEXT) | instid1(VALU_DEP_1)
	v_xor_b32_e32 v2, v4, v2
	v_lshrrev_b64 v[4:5], 17, v[2:3]
	s_delay_alu instid0(VALU_DEP_1) | instskip(NEXT) | instid1(VALU_DEP_2)
	v_xor_b32_e32 v3, v5, v3
	v_xor_b32_e32 v2, v4, v2
	s_delay_alu instid0(VALU_DEP_1) | instskip(NEXT) | instid1(VALU_DEP_1)
	v_lshlrev_b64 v[4:5], 5, v[2:3]
	v_xor_b32_e32 v3, v5, v3
	s_delay_alu instid0(VALU_DEP_2) | instskip(NEXT) | instid1(VALU_DEP_1)
	v_xor_b32_e32 v2, v4, v2
	v_lshlrev_b64 v[4:5], 13, v[2:3]
	s_delay_alu instid0(VALU_DEP_1) | instskip(NEXT) | instid1(VALU_DEP_2)
	v_xor_b32_e32 v3, v5, v3
	v_xor_b32_e32 v2, v4, v2
	s_delay_alu instid0(VALU_DEP_1) | instskip(NEXT) | instid1(VALU_DEP_1)
	v_lshrrev_b64 v[4:5], 17, v[2:3]
	v_xor_b32_e32 v3, v5, v3
	s_delay_alu instid0(VALU_DEP_2) | instskip(NEXT) | instid1(VALU_DEP_1)
	v_xor_b32_e32 v2, v4, v2
	v_lshlrev_b64 v[4:5], 5, v[2:3]
	s_delay_alu instid0(VALU_DEP_1) | instskip(NEXT) | instid1(VALU_DEP_2)
	v_xor_b32_e32 v3, v5, v3
	v_xor_b32_e32 v2, v4, v2
	s_delay_alu instid0(VALU_DEP_1) | instskip(NEXT) | instid1(VALU_DEP_1)
	v_lshlrev_b64 v[4:5], 13, v[2:3]
	v_xor_b32_e32 v3, v5, v3
	s_delay_alu instid0(VALU_DEP_2) | instskip(NEXT) | instid1(VALU_DEP_1)
	v_xor_b32_e32 v2, v4, v2
	v_alignbit_b32 v3, v3, v2, 17
	s_delay_alu instid0(VALU_DEP_1) | instskip(NEXT) | instid1(VALU_DEP_1)
	v_xor_b32_e32 v2, v3, v2
	v_lshlrev_b32_e32 v3, 5, v2
	s_delay_alu instid0(VALU_DEP_1) | instskip(NEXT) | instid1(VALU_DEP_1)
	v_xor_b32_e32 v2, v3, v2
	v_cvt_f64_u32_e32 v[2:3], v2
	s_delay_alu instid0(VALU_DEP_1) | instskip(NEXT) | instid1(VALU_DEP_1)
	v_div_scale_f64 v[4:5], null, s[0:1], s[0:1], v[2:3]
	v_rcp_f64_e32 v[6:7], v[4:5]
	s_waitcnt_depctr 0xfff
	v_fma_f64 v[8:9], -v[4:5], v[6:7], 1.0
	s_delay_alu instid0(VALU_DEP_1) | instskip(NEXT) | instid1(VALU_DEP_1)
	v_fma_f64 v[6:7], v[6:7], v[8:9], v[6:7]
	v_fma_f64 v[8:9], -v[4:5], v[6:7], 1.0
	s_delay_alu instid0(VALU_DEP_1) | instskip(SKIP_1) | instid1(VALU_DEP_1)
	v_fma_f64 v[6:7], v[6:7], v[8:9], v[6:7]
	v_div_scale_f64 v[8:9], vcc_lo, v[2:3], s[0:1], v[2:3]
	v_mul_f64 v[10:11], v[8:9], v[6:7]
	s_delay_alu instid0(VALU_DEP_1) | instskip(NEXT) | instid1(VALU_DEP_1)
	v_fma_f64 v[4:5], -v[4:5], v[10:11], v[8:9]
	v_div_fmas_f64 v[4:5], v[4:5], v[6:7], v[10:11]
	v_add_co_u32 v0, vcc_lo, s4, v0
	v_add_co_ci_u32_e32 v1, vcc_lo, s5, v1, vcc_lo
	s_delay_alu instid0(VALU_DEP_3) | instskip(NEXT) | instid1(VALU_DEP_1)
	v_div_fixup_f64 v[2:3], v[4:5], s[0:1], v[2:3]
	v_add_f64 v[2:3], v[2:3], -0.5
	global_store_b64 v[0:1], v[2:3], off
.LBB16_2:
	s_nop 0
	s_sendmsg sendmsg(MSG_DEALLOC_VGPRS)
	s_endpgm
	.section	.rodata,"a",@progbits
	.p2align	6, 0x0
	.amdhsa_kernel _Z11fill_kernelIdZ21hipblaslt_init_deviceIdEv8ABC_dims24hipblaslt_initializationbPT_mmmmmEUlmE4_EvS4_mmT0_
		.amdhsa_group_segment_fixed_size 0
		.amdhsa_private_segment_fixed_size 0
		.amdhsa_kernarg_size 288
		.amdhsa_user_sgpr_count 15
		.amdhsa_user_sgpr_dispatch_ptr 0
		.amdhsa_user_sgpr_queue_ptr 0
		.amdhsa_user_sgpr_kernarg_segment_ptr 1
		.amdhsa_user_sgpr_dispatch_id 0
		.amdhsa_user_sgpr_private_segment_size 0
		.amdhsa_wavefront_size32 1
		.amdhsa_uses_dynamic_stack 0
		.amdhsa_enable_private_segment 0
		.amdhsa_system_sgpr_workgroup_id_x 1
		.amdhsa_system_sgpr_workgroup_id_y 0
		.amdhsa_system_sgpr_workgroup_id_z 0
		.amdhsa_system_sgpr_workgroup_info 0
		.amdhsa_system_vgpr_workitem_id 0
		.amdhsa_next_free_vgpr 12
		.amdhsa_next_free_sgpr 16
		.amdhsa_reserve_vcc 1
		.amdhsa_float_round_mode_32 0
		.amdhsa_float_round_mode_16_64 0
		.amdhsa_float_denorm_mode_32 3
		.amdhsa_float_denorm_mode_16_64 3
		.amdhsa_dx10_clamp 1
		.amdhsa_ieee_mode 1
		.amdhsa_fp16_overflow 0
		.amdhsa_workgroup_processor_mode 1
		.amdhsa_memory_ordered 1
		.amdhsa_forward_progress 0
		.amdhsa_shared_vgpr_count 0
		.amdhsa_exception_fp_ieee_invalid_op 0
		.amdhsa_exception_fp_denorm_src 0
		.amdhsa_exception_fp_ieee_div_zero 0
		.amdhsa_exception_fp_ieee_overflow 0
		.amdhsa_exception_fp_ieee_underflow 0
		.amdhsa_exception_fp_ieee_inexact 0
		.amdhsa_exception_int_div_zero 0
	.end_amdhsa_kernel
	.section	.text._Z11fill_kernelIdZ21hipblaslt_init_deviceIdEv8ABC_dims24hipblaslt_initializationbPT_mmmmmEUlmE4_EvS4_mmT0_,"axG",@progbits,_Z11fill_kernelIdZ21hipblaslt_init_deviceIdEv8ABC_dims24hipblaslt_initializationbPT_mmmmmEUlmE4_EvS4_mmT0_,comdat
.Lfunc_end16:
	.size	_Z11fill_kernelIdZ21hipblaslt_init_deviceIdEv8ABC_dims24hipblaslt_initializationbPT_mmmmmEUlmE4_EvS4_mmT0_, .Lfunc_end16-_Z11fill_kernelIdZ21hipblaslt_init_deviceIdEv8ABC_dims24hipblaslt_initializationbPT_mmmmmEUlmE4_EvS4_mmT0_
                                        ; -- End function
	.section	.AMDGPU.csdata,"",@progbits
; Kernel info:
; codeLenInByte = 496
; NumSgprs: 18
; NumVgprs: 12
; ScratchSize: 0
; MemoryBound: 0
; FloatMode: 240
; IeeeMode: 1
; LDSByteSize: 0 bytes/workgroup (compile time only)
; SGPRBlocks: 2
; VGPRBlocks: 1
; NumSGPRsForWavesPerEU: 18
; NumVGPRsForWavesPerEU: 12
; Occupancy: 16
; WaveLimiterHint : 0
; COMPUTE_PGM_RSRC2:SCRATCH_EN: 0
; COMPUTE_PGM_RSRC2:USER_SGPR: 15
; COMPUTE_PGM_RSRC2:TRAP_HANDLER: 0
; COMPUTE_PGM_RSRC2:TGID_X_EN: 1
; COMPUTE_PGM_RSRC2:TGID_Y_EN: 0
; COMPUTE_PGM_RSRC2:TGID_Z_EN: 0
; COMPUTE_PGM_RSRC2:TIDIG_COMP_CNT: 0
	.section	.text._Z11fill_kernelIdZ21hipblaslt_init_deviceIdEv8ABC_dims24hipblaslt_initializationbPT_mmmmmEUlmE5_EvS4_mmT0_,"axG",@progbits,_Z11fill_kernelIdZ21hipblaslt_init_deviceIdEv8ABC_dims24hipblaslt_initializationbPT_mmmmmEUlmE5_EvS4_mmT0_,comdat
	.protected	_Z11fill_kernelIdZ21hipblaslt_init_deviceIdEv8ABC_dims24hipblaslt_initializationbPT_mmmmmEUlmE5_EvS4_mmT0_ ; -- Begin function _Z11fill_kernelIdZ21hipblaslt_init_deviceIdEv8ABC_dims24hipblaslt_initializationbPT_mmmmmEUlmE5_EvS4_mmT0_
	.globl	_Z11fill_kernelIdZ21hipblaslt_init_deviceIdEv8ABC_dims24hipblaslt_initializationbPT_mmmmmEUlmE5_EvS4_mmT0_
	.p2align	8
	.type	_Z11fill_kernelIdZ21hipblaslt_init_deviceIdEv8ABC_dims24hipblaslt_initializationbPT_mmmmmEUlmE5_EvS4_mmT0_,@function
_Z11fill_kernelIdZ21hipblaslt_init_deviceIdEv8ABC_dims24hipblaslt_initializationbPT_mmmmmEUlmE5_EvS4_mmT0_: ; @_Z11fill_kernelIdZ21hipblaslt_init_deviceIdEv8ABC_dims24hipblaslt_initializationbPT_mmmmmEUlmE5_EvS4_mmT0_
; %bb.0:
	s_clause 0x1
	s_load_b32 s2, s[0:1], 0x2c
	s_load_b128 s[4:7], s[0:1], 0x0
	s_waitcnt lgkmcnt(0)
	s_and_b32 s2, s2, 0xffff
	s_delay_alu instid0(SALU_CYCLE_1) | instskip(SKIP_2) | instid1(VALU_DEP_1)
	v_mad_u64_u32 v[1:2], null, s15, s2, v[0:1]
	v_mov_b32_e32 v2, 0
	s_mov_b32 s2, exec_lo
	v_cmpx_gt_u64_e64 s[6:7], v[1:2]
	s_cbranch_execz .LBB17_2
; %bb.1:
	s_load_b64 s[0:1], s[0:1], 0x10
	v_lshlrev_b64 v[0:1], 3, v[1:2]
	v_mov_b32_e32 v3, 0x40efe000
	s_waitcnt lgkmcnt(0)
	s_lshl_b64 s[0:1], s[0:1], 3
	s_delay_alu instid0(SALU_CYCLE_1)
	s_add_u32 s0, s0, s4
	s_addc_u32 s1, s1, s5
	v_add_co_u32 v0, vcc_lo, s0, v0
	v_add_co_ci_u32_e32 v1, vcc_lo, s1, v1, vcc_lo
	global_store_b64 v[0:1], v[2:3], off
.LBB17_2:
	s_nop 0
	s_sendmsg sendmsg(MSG_DEALLOC_VGPRS)
	s_endpgm
	.section	.rodata,"a",@progbits
	.p2align	6, 0x0
	.amdhsa_kernel _Z11fill_kernelIdZ21hipblaslt_init_deviceIdEv8ABC_dims24hipblaslt_initializationbPT_mmmmmEUlmE5_EvS4_mmT0_
		.amdhsa_group_segment_fixed_size 0
		.amdhsa_private_segment_fixed_size 0
		.amdhsa_kernarg_size 288
		.amdhsa_user_sgpr_count 15
		.amdhsa_user_sgpr_dispatch_ptr 0
		.amdhsa_user_sgpr_queue_ptr 0
		.amdhsa_user_sgpr_kernarg_segment_ptr 1
		.amdhsa_user_sgpr_dispatch_id 0
		.amdhsa_user_sgpr_private_segment_size 0
		.amdhsa_wavefront_size32 1
		.amdhsa_uses_dynamic_stack 0
		.amdhsa_enable_private_segment 0
		.amdhsa_system_sgpr_workgroup_id_x 1
		.amdhsa_system_sgpr_workgroup_id_y 0
		.amdhsa_system_sgpr_workgroup_id_z 0
		.amdhsa_system_sgpr_workgroup_info 0
		.amdhsa_system_vgpr_workitem_id 0
		.amdhsa_next_free_vgpr 4
		.amdhsa_next_free_sgpr 16
		.amdhsa_reserve_vcc 1
		.amdhsa_float_round_mode_32 0
		.amdhsa_float_round_mode_16_64 0
		.amdhsa_float_denorm_mode_32 3
		.amdhsa_float_denorm_mode_16_64 3
		.amdhsa_dx10_clamp 1
		.amdhsa_ieee_mode 1
		.amdhsa_fp16_overflow 0
		.amdhsa_workgroup_processor_mode 1
		.amdhsa_memory_ordered 1
		.amdhsa_forward_progress 0
		.amdhsa_shared_vgpr_count 0
		.amdhsa_exception_fp_ieee_invalid_op 0
		.amdhsa_exception_fp_denorm_src 0
		.amdhsa_exception_fp_ieee_div_zero 0
		.amdhsa_exception_fp_ieee_overflow 0
		.amdhsa_exception_fp_ieee_underflow 0
		.amdhsa_exception_fp_ieee_inexact 0
		.amdhsa_exception_int_div_zero 0
	.end_amdhsa_kernel
	.section	.text._Z11fill_kernelIdZ21hipblaslt_init_deviceIdEv8ABC_dims24hipblaslt_initializationbPT_mmmmmEUlmE5_EvS4_mmT0_,"axG",@progbits,_Z11fill_kernelIdZ21hipblaslt_init_deviceIdEv8ABC_dims24hipblaslt_initializationbPT_mmmmmEUlmE5_EvS4_mmT0_,comdat
.Lfunc_end17:
	.size	_Z11fill_kernelIdZ21hipblaslt_init_deviceIdEv8ABC_dims24hipblaslt_initializationbPT_mmmmmEUlmE5_EvS4_mmT0_, .Lfunc_end17-_Z11fill_kernelIdZ21hipblaslt_init_deviceIdEv8ABC_dims24hipblaslt_initializationbPT_mmmmmEUlmE5_EvS4_mmT0_
                                        ; -- End function
	.section	.AMDGPU.csdata,"",@progbits
; Kernel info:
; codeLenInByte = 140
; NumSgprs: 18
; NumVgprs: 4
; ScratchSize: 0
; MemoryBound: 0
; FloatMode: 240
; IeeeMode: 1
; LDSByteSize: 0 bytes/workgroup (compile time only)
; SGPRBlocks: 2
; VGPRBlocks: 0
; NumSGPRsForWavesPerEU: 18
; NumVGPRsForWavesPerEU: 4
; Occupancy: 16
; WaveLimiterHint : 0
; COMPUTE_PGM_RSRC2:SCRATCH_EN: 0
; COMPUTE_PGM_RSRC2:USER_SGPR: 15
; COMPUTE_PGM_RSRC2:TRAP_HANDLER: 0
; COMPUTE_PGM_RSRC2:TGID_X_EN: 1
; COMPUTE_PGM_RSRC2:TGID_Y_EN: 0
; COMPUTE_PGM_RSRC2:TGID_Z_EN: 0
; COMPUTE_PGM_RSRC2:TIDIG_COMP_CNT: 0
	.section	.text._Z11fill_kernelIdZ21hipblaslt_init_deviceIdEv8ABC_dims24hipblaslt_initializationbPT_mmmmmEUlmE6_EvS4_mmT0_,"axG",@progbits,_Z11fill_kernelIdZ21hipblaslt_init_deviceIdEv8ABC_dims24hipblaslt_initializationbPT_mmmmmEUlmE6_EvS4_mmT0_,comdat
	.protected	_Z11fill_kernelIdZ21hipblaslt_init_deviceIdEv8ABC_dims24hipblaslt_initializationbPT_mmmmmEUlmE6_EvS4_mmT0_ ; -- Begin function _Z11fill_kernelIdZ21hipblaslt_init_deviceIdEv8ABC_dims24hipblaslt_initializationbPT_mmmmmEUlmE6_EvS4_mmT0_
	.globl	_Z11fill_kernelIdZ21hipblaslt_init_deviceIdEv8ABC_dims24hipblaslt_initializationbPT_mmmmmEUlmE6_EvS4_mmT0_
	.p2align	8
	.type	_Z11fill_kernelIdZ21hipblaslt_init_deviceIdEv8ABC_dims24hipblaslt_initializationbPT_mmmmmEUlmE6_EvS4_mmT0_,@function
_Z11fill_kernelIdZ21hipblaslt_init_deviceIdEv8ABC_dims24hipblaslt_initializationbPT_mmmmmEUlmE6_EvS4_mmT0_: ; @_Z11fill_kernelIdZ21hipblaslt_init_deviceIdEv8ABC_dims24hipblaslt_initializationbPT_mmmmmEUlmE6_EvS4_mmT0_
; %bb.0:
	s_clause 0x1
	s_load_b32 s2, s[0:1], 0x2c
	s_load_b128 s[4:7], s[0:1], 0x0
	s_waitcnt lgkmcnt(0)
	s_and_b32 s2, s2, 0xffff
	s_delay_alu instid0(SALU_CYCLE_1) | instskip(SKIP_2) | instid1(VALU_DEP_1)
	v_mad_u64_u32 v[1:2], null, s15, s2, v[0:1]
	v_mov_b32_e32 v2, 0
	s_mov_b32 s2, exec_lo
	v_cmpx_gt_u64_e64 s[6:7], v[1:2]
	s_cbranch_execz .LBB18_2
; %bb.1:
	s_load_b64 s[0:1], s[0:1], 0x10
	v_lshlrev_b64 v[0:1], 3, v[1:2]
	v_mov_b32_e32 v3, 0x3f0fe000
	s_waitcnt lgkmcnt(0)
	s_lshl_b64 s[0:1], s[0:1], 3
	s_delay_alu instid0(SALU_CYCLE_1)
	s_add_u32 s0, s0, s4
	s_addc_u32 s1, s1, s5
	v_add_co_u32 v0, vcc_lo, s0, v0
	v_add_co_ci_u32_e32 v1, vcc_lo, s1, v1, vcc_lo
	global_store_b64 v[0:1], v[2:3], off
.LBB18_2:
	s_nop 0
	s_sendmsg sendmsg(MSG_DEALLOC_VGPRS)
	s_endpgm
	.section	.rodata,"a",@progbits
	.p2align	6, 0x0
	.amdhsa_kernel _Z11fill_kernelIdZ21hipblaslt_init_deviceIdEv8ABC_dims24hipblaslt_initializationbPT_mmmmmEUlmE6_EvS4_mmT0_
		.amdhsa_group_segment_fixed_size 0
		.amdhsa_private_segment_fixed_size 0
		.amdhsa_kernarg_size 288
		.amdhsa_user_sgpr_count 15
		.amdhsa_user_sgpr_dispatch_ptr 0
		.amdhsa_user_sgpr_queue_ptr 0
		.amdhsa_user_sgpr_kernarg_segment_ptr 1
		.amdhsa_user_sgpr_dispatch_id 0
		.amdhsa_user_sgpr_private_segment_size 0
		.amdhsa_wavefront_size32 1
		.amdhsa_uses_dynamic_stack 0
		.amdhsa_enable_private_segment 0
		.amdhsa_system_sgpr_workgroup_id_x 1
		.amdhsa_system_sgpr_workgroup_id_y 0
		.amdhsa_system_sgpr_workgroup_id_z 0
		.amdhsa_system_sgpr_workgroup_info 0
		.amdhsa_system_vgpr_workitem_id 0
		.amdhsa_next_free_vgpr 4
		.amdhsa_next_free_sgpr 16
		.amdhsa_reserve_vcc 1
		.amdhsa_float_round_mode_32 0
		.amdhsa_float_round_mode_16_64 0
		.amdhsa_float_denorm_mode_32 3
		.amdhsa_float_denorm_mode_16_64 3
		.amdhsa_dx10_clamp 1
		.amdhsa_ieee_mode 1
		.amdhsa_fp16_overflow 0
		.amdhsa_workgroup_processor_mode 1
		.amdhsa_memory_ordered 1
		.amdhsa_forward_progress 0
		.amdhsa_shared_vgpr_count 0
		.amdhsa_exception_fp_ieee_invalid_op 0
		.amdhsa_exception_fp_denorm_src 0
		.amdhsa_exception_fp_ieee_div_zero 0
		.amdhsa_exception_fp_ieee_overflow 0
		.amdhsa_exception_fp_ieee_underflow 0
		.amdhsa_exception_fp_ieee_inexact 0
		.amdhsa_exception_int_div_zero 0
	.end_amdhsa_kernel
	.section	.text._Z11fill_kernelIdZ21hipblaslt_init_deviceIdEv8ABC_dims24hipblaslt_initializationbPT_mmmmmEUlmE6_EvS4_mmT0_,"axG",@progbits,_Z11fill_kernelIdZ21hipblaslt_init_deviceIdEv8ABC_dims24hipblaslt_initializationbPT_mmmmmEUlmE6_EvS4_mmT0_,comdat
.Lfunc_end18:
	.size	_Z11fill_kernelIdZ21hipblaslt_init_deviceIdEv8ABC_dims24hipblaslt_initializationbPT_mmmmmEUlmE6_EvS4_mmT0_, .Lfunc_end18-_Z11fill_kernelIdZ21hipblaslt_init_deviceIdEv8ABC_dims24hipblaslt_initializationbPT_mmmmmEUlmE6_EvS4_mmT0_
                                        ; -- End function
	.section	.AMDGPU.csdata,"",@progbits
; Kernel info:
; codeLenInByte = 140
; NumSgprs: 18
; NumVgprs: 4
; ScratchSize: 0
; MemoryBound: 0
; FloatMode: 240
; IeeeMode: 1
; LDSByteSize: 0 bytes/workgroup (compile time only)
; SGPRBlocks: 2
; VGPRBlocks: 0
; NumSGPRsForWavesPerEU: 18
; NumVGPRsForWavesPerEU: 4
; Occupancy: 16
; WaveLimiterHint : 0
; COMPUTE_PGM_RSRC2:SCRATCH_EN: 0
; COMPUTE_PGM_RSRC2:USER_SGPR: 15
; COMPUTE_PGM_RSRC2:TRAP_HANDLER: 0
; COMPUTE_PGM_RSRC2:TGID_X_EN: 1
; COMPUTE_PGM_RSRC2:TGID_Y_EN: 0
; COMPUTE_PGM_RSRC2:TGID_Z_EN: 0
; COMPUTE_PGM_RSRC2:TIDIG_COMP_CNT: 0
	.section	.text._Z11fill_kernelIdZ21hipblaslt_init_deviceIdEv8ABC_dims24hipblaslt_initializationbPT_mmmmmEUlmE7_EvS4_mmT0_,"axG",@progbits,_Z11fill_kernelIdZ21hipblaslt_init_deviceIdEv8ABC_dims24hipblaslt_initializationbPT_mmmmmEUlmE7_EvS4_mmT0_,comdat
	.protected	_Z11fill_kernelIdZ21hipblaslt_init_deviceIdEv8ABC_dims24hipblaslt_initializationbPT_mmmmmEUlmE7_EvS4_mmT0_ ; -- Begin function _Z11fill_kernelIdZ21hipblaslt_init_deviceIdEv8ABC_dims24hipblaslt_initializationbPT_mmmmmEUlmE7_EvS4_mmT0_
	.globl	_Z11fill_kernelIdZ21hipblaslt_init_deviceIdEv8ABC_dims24hipblaslt_initializationbPT_mmmmmEUlmE7_EvS4_mmT0_
	.p2align	8
	.type	_Z11fill_kernelIdZ21hipblaslt_init_deviceIdEv8ABC_dims24hipblaslt_initializationbPT_mmmmmEUlmE7_EvS4_mmT0_,@function
_Z11fill_kernelIdZ21hipblaslt_init_deviceIdEv8ABC_dims24hipblaslt_initializationbPT_mmmmmEUlmE7_EvS4_mmT0_: ; @_Z11fill_kernelIdZ21hipblaslt_init_deviceIdEv8ABC_dims24hipblaslt_initializationbPT_mmmmmEUlmE7_EvS4_mmT0_
; %bb.0:
	s_clause 0x1
	s_load_b32 s2, s[0:1], 0x2c
	s_load_b128 s[4:7], s[0:1], 0x0
	s_waitcnt lgkmcnt(0)
	s_and_b32 s2, s2, 0xffff
	s_delay_alu instid0(SALU_CYCLE_1) | instskip(SKIP_2) | instid1(VALU_DEP_1)
	v_mad_u64_u32 v[1:2], null, s15, s2, v[0:1]
	v_mov_b32_e32 v2, 0
	s_mov_b32 s2, exec_lo
	v_cmpx_gt_u64_e64 s[6:7], v[1:2]
	s_cbranch_execz .LBB19_2
; %bb.1:
	s_load_b64 s[0:1], s[0:1], 0x10
	s_mov_b32 s2, 0x19660d
	s_waitcnt lgkmcnt(0)
	v_add_co_u32 v0, s0, v1, s0
	s_delay_alu instid0(VALU_DEP_1) | instskip(NEXT) | instid1(VALU_DEP_2)
	v_add_co_ci_u32_e64 v1, null, 0, s1, s0
	v_mad_u64_u32 v[2:3], null, v0, s2, 0x3c6ef35f
	s_delay_alu instid0(VALU_DEP_1) | instskip(SKIP_1) | instid1(VALU_DEP_1)
	v_mad_u64_u32 v[4:5], null, 0x19660d, v1, v[3:4]
	v_lshlrev_b64 v[0:1], 3, v[0:1]
	v_add_co_u32 v0, vcc_lo, s4, v0
	s_delay_alu instid0(VALU_DEP_3) | instskip(NEXT) | instid1(VALU_DEP_3)
	v_mov_b32_e32 v3, v4
	v_add_co_ci_u32_e32 v1, vcc_lo, s5, v1, vcc_lo
	s_delay_alu instid0(VALU_DEP_2) | instskip(NEXT) | instid1(VALU_DEP_1)
	v_lshlrev_b64 v[4:5], 13, v[2:3]
	v_xor_b32_e32 v3, v5, v3
	s_delay_alu instid0(VALU_DEP_2) | instskip(NEXT) | instid1(VALU_DEP_1)
	v_xor_b32_e32 v2, v4, v2
	v_lshrrev_b64 v[4:5], 17, v[2:3]
	s_delay_alu instid0(VALU_DEP_1) | instskip(NEXT) | instid1(VALU_DEP_2)
	v_xor_b32_e32 v3, v5, v3
	v_xor_b32_e32 v2, v4, v2
	s_delay_alu instid0(VALU_DEP_1) | instskip(NEXT) | instid1(VALU_DEP_1)
	v_lshlrev_b64 v[4:5], 5, v[2:3]
	v_xor_b32_e32 v3, v5, v3
	s_delay_alu instid0(VALU_DEP_2) | instskip(NEXT) | instid1(VALU_DEP_1)
	v_xor_b32_e32 v2, v4, v2
	v_lshlrev_b64 v[4:5], 13, v[2:3]
	s_delay_alu instid0(VALU_DEP_1) | instskip(NEXT) | instid1(VALU_DEP_2)
	v_xor_b32_e32 v3, v5, v3
	v_xor_b32_e32 v2, v4, v2
	s_delay_alu instid0(VALU_DEP_1) | instskip(NEXT) | instid1(VALU_DEP_1)
	v_lshrrev_b64 v[4:5], 17, v[2:3]
	v_xor_b32_e32 v3, v5, v3
	s_delay_alu instid0(VALU_DEP_2) | instskip(NEXT) | instid1(VALU_DEP_1)
	v_xor_b32_e32 v2, v4, v2
	v_lshlrev_b64 v[4:5], 5, v[2:3]
	s_delay_alu instid0(VALU_DEP_1) | instskip(NEXT) | instid1(VALU_DEP_2)
	v_xor_b32_e32 v3, v5, v3
	v_xor_b32_e32 v2, v4, v2
	s_delay_alu instid0(VALU_DEP_1) | instskip(NEXT) | instid1(VALU_DEP_1)
	v_lshlrev_b64 v[4:5], 13, v[2:3]
	v_xor_b32_e32 v3, v5, v3
	s_delay_alu instid0(VALU_DEP_2) | instskip(NEXT) | instid1(VALU_DEP_1)
	v_xor_b32_e32 v2, v4, v2
	v_alignbit_b32 v3, v3, v2, 17
	s_delay_alu instid0(VALU_DEP_1) | instskip(NEXT) | instid1(VALU_DEP_1)
	v_xor_b32_e32 v2, v3, v2
	v_lshlrev_b32_e32 v3, 5, v2
	s_delay_alu instid0(VALU_DEP_1) | instskip(NEXT) | instid1(VALU_DEP_1)
	v_xor_b32_e32 v2, v3, v2
	v_mul_hi_u32 v3, 0xcccccccd, v2
	s_delay_alu instid0(VALU_DEP_1) | instskip(NEXT) | instid1(VALU_DEP_1)
	v_lshrrev_b32_e32 v3, 3, v3
	v_mul_lo_u32 v3, v3, 10
	s_delay_alu instid0(VALU_DEP_1) | instskip(NEXT) | instid1(VALU_DEP_1)
	v_sub_nc_u32_e32 v2, v2, v3
	v_add_nc_u32_e32 v2, 1, v2
	s_delay_alu instid0(VALU_DEP_1)
	v_cvt_f64_u32_e32 v[2:3], v2
	global_store_b64 v[0:1], v[2:3], off
.LBB19_2:
	s_nop 0
	s_sendmsg sendmsg(MSG_DEALLOC_VGPRS)
	s_endpgm
	.section	.rodata,"a",@progbits
	.p2align	6, 0x0
	.amdhsa_kernel _Z11fill_kernelIdZ21hipblaslt_init_deviceIdEv8ABC_dims24hipblaslt_initializationbPT_mmmmmEUlmE7_EvS4_mmT0_
		.amdhsa_group_segment_fixed_size 0
		.amdhsa_private_segment_fixed_size 0
		.amdhsa_kernarg_size 288
		.amdhsa_user_sgpr_count 15
		.amdhsa_user_sgpr_dispatch_ptr 0
		.amdhsa_user_sgpr_queue_ptr 0
		.amdhsa_user_sgpr_kernarg_segment_ptr 1
		.amdhsa_user_sgpr_dispatch_id 0
		.amdhsa_user_sgpr_private_segment_size 0
		.amdhsa_wavefront_size32 1
		.amdhsa_uses_dynamic_stack 0
		.amdhsa_enable_private_segment 0
		.amdhsa_system_sgpr_workgroup_id_x 1
		.amdhsa_system_sgpr_workgroup_id_y 0
		.amdhsa_system_sgpr_workgroup_id_z 0
		.amdhsa_system_sgpr_workgroup_info 0
		.amdhsa_system_vgpr_workitem_id 0
		.amdhsa_next_free_vgpr 6
		.amdhsa_next_free_sgpr 16
		.amdhsa_reserve_vcc 1
		.amdhsa_float_round_mode_32 0
		.amdhsa_float_round_mode_16_64 0
		.amdhsa_float_denorm_mode_32 3
		.amdhsa_float_denorm_mode_16_64 3
		.amdhsa_dx10_clamp 1
		.amdhsa_ieee_mode 1
		.amdhsa_fp16_overflow 0
		.amdhsa_workgroup_processor_mode 1
		.amdhsa_memory_ordered 1
		.amdhsa_forward_progress 0
		.amdhsa_shared_vgpr_count 0
		.amdhsa_exception_fp_ieee_invalid_op 0
		.amdhsa_exception_fp_denorm_src 0
		.amdhsa_exception_fp_ieee_div_zero 0
		.amdhsa_exception_fp_ieee_overflow 0
		.amdhsa_exception_fp_ieee_underflow 0
		.amdhsa_exception_fp_ieee_inexact 0
		.amdhsa_exception_int_div_zero 0
	.end_amdhsa_kernel
	.section	.text._Z11fill_kernelIdZ21hipblaslt_init_deviceIdEv8ABC_dims24hipblaslt_initializationbPT_mmmmmEUlmE7_EvS4_mmT0_,"axG",@progbits,_Z11fill_kernelIdZ21hipblaslt_init_deviceIdEv8ABC_dims24hipblaslt_initializationbPT_mmmmmEUlmE7_EvS4_mmT0_,comdat
.Lfunc_end19:
	.size	_Z11fill_kernelIdZ21hipblaslt_init_deviceIdEv8ABC_dims24hipblaslt_initializationbPT_mmmmmEUlmE7_EvS4_mmT0_, .Lfunc_end19-_Z11fill_kernelIdZ21hipblaslt_init_deviceIdEv8ABC_dims24hipblaslt_initializationbPT_mmmmmEUlmE7_EvS4_mmT0_
                                        ; -- End function
	.section	.AMDGPU.csdata,"",@progbits
; Kernel info:
; codeLenInByte = 412
; NumSgprs: 18
; NumVgprs: 6
; ScratchSize: 0
; MemoryBound: 0
; FloatMode: 240
; IeeeMode: 1
; LDSByteSize: 0 bytes/workgroup (compile time only)
; SGPRBlocks: 2
; VGPRBlocks: 0
; NumSGPRsForWavesPerEU: 18
; NumVGPRsForWavesPerEU: 6
; Occupancy: 16
; WaveLimiterHint : 0
; COMPUTE_PGM_RSRC2:SCRATCH_EN: 0
; COMPUTE_PGM_RSRC2:USER_SGPR: 15
; COMPUTE_PGM_RSRC2:TRAP_HANDLER: 0
; COMPUTE_PGM_RSRC2:TGID_X_EN: 1
; COMPUTE_PGM_RSRC2:TGID_Y_EN: 0
; COMPUTE_PGM_RSRC2:TGID_Z_EN: 0
; COMPUTE_PGM_RSRC2:TIDIG_COMP_CNT: 0
	.section	.text._Z11fill_kernelIdZ21hipblaslt_init_deviceIdEv8ABC_dims24hipblaslt_initializationbPT_mmmmmEUlmE8_EvS4_mmT0_,"axG",@progbits,_Z11fill_kernelIdZ21hipblaslt_init_deviceIdEv8ABC_dims24hipblaslt_initializationbPT_mmmmmEUlmE8_EvS4_mmT0_,comdat
	.protected	_Z11fill_kernelIdZ21hipblaslt_init_deviceIdEv8ABC_dims24hipblaslt_initializationbPT_mmmmmEUlmE8_EvS4_mmT0_ ; -- Begin function _Z11fill_kernelIdZ21hipblaslt_init_deviceIdEv8ABC_dims24hipblaslt_initializationbPT_mmmmmEUlmE8_EvS4_mmT0_
	.globl	_Z11fill_kernelIdZ21hipblaslt_init_deviceIdEv8ABC_dims24hipblaslt_initializationbPT_mmmmmEUlmE8_EvS4_mmT0_
	.p2align	8
	.type	_Z11fill_kernelIdZ21hipblaslt_init_deviceIdEv8ABC_dims24hipblaslt_initializationbPT_mmmmmEUlmE8_EvS4_mmT0_,@function
_Z11fill_kernelIdZ21hipblaslt_init_deviceIdEv8ABC_dims24hipblaslt_initializationbPT_mmmmmEUlmE8_EvS4_mmT0_: ; @_Z11fill_kernelIdZ21hipblaslt_init_deviceIdEv8ABC_dims24hipblaslt_initializationbPT_mmmmmEUlmE8_EvS4_mmT0_
; %bb.0:
	s_clause 0x1
	s_load_b32 s2, s[0:1], 0x2c
	s_load_b128 s[4:7], s[0:1], 0x0
	s_waitcnt lgkmcnt(0)
	s_and_b32 s2, s2, 0xffff
	s_delay_alu instid0(SALU_CYCLE_1) | instskip(SKIP_2) | instid1(VALU_DEP_1)
	v_mad_u64_u32 v[1:2], null, s15, s2, v[0:1]
	v_mov_b32_e32 v2, 0
	s_mov_b32 s2, exec_lo
	v_cmpx_gt_u64_e64 s[6:7], v[1:2]
	s_cbranch_execz .LBB20_2
; %bb.1:
	s_load_b64 s[0:1], s[0:1], 0x10
	v_lshlrev_b64 v[0:1], 3, v[1:2]
	s_waitcnt lgkmcnt(0)
	s_lshl_b64 s[0:1], s[0:1], 3
	s_delay_alu instid0(SALU_CYCLE_1) | instskip(SKIP_1) | instid1(VALU_DEP_1)
	s_add_u32 s0, s0, s4
	s_addc_u32 s1, s1, s5
	v_add_co_u32 v3, vcc_lo, s0, v0
	v_add_co_ci_u32_e32 v4, vcc_lo, s1, v1, vcc_lo
	v_mov_b32_e32 v1, v2
	global_store_b64 v[3:4], v[1:2], off
.LBB20_2:
	s_nop 0
	s_sendmsg sendmsg(MSG_DEALLOC_VGPRS)
	s_endpgm
	.section	.rodata,"a",@progbits
	.p2align	6, 0x0
	.amdhsa_kernel _Z11fill_kernelIdZ21hipblaslt_init_deviceIdEv8ABC_dims24hipblaslt_initializationbPT_mmmmmEUlmE8_EvS4_mmT0_
		.amdhsa_group_segment_fixed_size 0
		.amdhsa_private_segment_fixed_size 0
		.amdhsa_kernarg_size 288
		.amdhsa_user_sgpr_count 15
		.amdhsa_user_sgpr_dispatch_ptr 0
		.amdhsa_user_sgpr_queue_ptr 0
		.amdhsa_user_sgpr_kernarg_segment_ptr 1
		.amdhsa_user_sgpr_dispatch_id 0
		.amdhsa_user_sgpr_private_segment_size 0
		.amdhsa_wavefront_size32 1
		.amdhsa_uses_dynamic_stack 0
		.amdhsa_enable_private_segment 0
		.amdhsa_system_sgpr_workgroup_id_x 1
		.amdhsa_system_sgpr_workgroup_id_y 0
		.amdhsa_system_sgpr_workgroup_id_z 0
		.amdhsa_system_sgpr_workgroup_info 0
		.amdhsa_system_vgpr_workitem_id 0
		.amdhsa_next_free_vgpr 5
		.amdhsa_next_free_sgpr 16
		.amdhsa_reserve_vcc 1
		.amdhsa_float_round_mode_32 0
		.amdhsa_float_round_mode_16_64 0
		.amdhsa_float_denorm_mode_32 3
		.amdhsa_float_denorm_mode_16_64 3
		.amdhsa_dx10_clamp 1
		.amdhsa_ieee_mode 1
		.amdhsa_fp16_overflow 0
		.amdhsa_workgroup_processor_mode 1
		.amdhsa_memory_ordered 1
		.amdhsa_forward_progress 0
		.amdhsa_shared_vgpr_count 0
		.amdhsa_exception_fp_ieee_invalid_op 0
		.amdhsa_exception_fp_denorm_src 0
		.amdhsa_exception_fp_ieee_div_zero 0
		.amdhsa_exception_fp_ieee_overflow 0
		.amdhsa_exception_fp_ieee_underflow 0
		.amdhsa_exception_fp_ieee_inexact 0
		.amdhsa_exception_int_div_zero 0
	.end_amdhsa_kernel
	.section	.text._Z11fill_kernelIdZ21hipblaslt_init_deviceIdEv8ABC_dims24hipblaslt_initializationbPT_mmmmmEUlmE8_EvS4_mmT0_,"axG",@progbits,_Z11fill_kernelIdZ21hipblaslt_init_deviceIdEv8ABC_dims24hipblaslt_initializationbPT_mmmmmEUlmE8_EvS4_mmT0_,comdat
.Lfunc_end20:
	.size	_Z11fill_kernelIdZ21hipblaslt_init_deviceIdEv8ABC_dims24hipblaslt_initializationbPT_mmmmmEUlmE8_EvS4_mmT0_, .Lfunc_end20-_Z11fill_kernelIdZ21hipblaslt_init_deviceIdEv8ABC_dims24hipblaslt_initializationbPT_mmmmmEUlmE8_EvS4_mmT0_
                                        ; -- End function
	.section	.AMDGPU.csdata,"",@progbits
; Kernel info:
; codeLenInByte = 136
; NumSgprs: 18
; NumVgprs: 5
; ScratchSize: 0
; MemoryBound: 0
; FloatMode: 240
; IeeeMode: 1
; LDSByteSize: 0 bytes/workgroup (compile time only)
; SGPRBlocks: 2
; VGPRBlocks: 0
; NumSGPRsForWavesPerEU: 18
; NumVGPRsForWavesPerEU: 5
; Occupancy: 16
; WaveLimiterHint : 0
; COMPUTE_PGM_RSRC2:SCRATCH_EN: 0
; COMPUTE_PGM_RSRC2:USER_SGPR: 15
; COMPUTE_PGM_RSRC2:TRAP_HANDLER: 0
; COMPUTE_PGM_RSRC2:TGID_X_EN: 1
; COMPUTE_PGM_RSRC2:TGID_Y_EN: 0
; COMPUTE_PGM_RSRC2:TGID_Z_EN: 0
; COMPUTE_PGM_RSRC2:TIDIG_COMP_CNT: 0
	.section	.text._Z11fill_kernelIdZ21hipblaslt_init_deviceIdEv8ABC_dims24hipblaslt_initializationbPT_mmmmmEUlmE9_EvS4_mmT0_,"axG",@progbits,_Z11fill_kernelIdZ21hipblaslt_init_deviceIdEv8ABC_dims24hipblaslt_initializationbPT_mmmmmEUlmE9_EvS4_mmT0_,comdat
	.protected	_Z11fill_kernelIdZ21hipblaslt_init_deviceIdEv8ABC_dims24hipblaslt_initializationbPT_mmmmmEUlmE9_EvS4_mmT0_ ; -- Begin function _Z11fill_kernelIdZ21hipblaslt_init_deviceIdEv8ABC_dims24hipblaslt_initializationbPT_mmmmmEUlmE9_EvS4_mmT0_
	.globl	_Z11fill_kernelIdZ21hipblaslt_init_deviceIdEv8ABC_dims24hipblaslt_initializationbPT_mmmmmEUlmE9_EvS4_mmT0_
	.p2align	8
	.type	_Z11fill_kernelIdZ21hipblaslt_init_deviceIdEv8ABC_dims24hipblaslt_initializationbPT_mmmmmEUlmE9_EvS4_mmT0_,@function
_Z11fill_kernelIdZ21hipblaslt_init_deviceIdEv8ABC_dims24hipblaslt_initializationbPT_mmmmmEUlmE9_EvS4_mmT0_: ; @_Z11fill_kernelIdZ21hipblaslt_init_deviceIdEv8ABC_dims24hipblaslt_initializationbPT_mmmmmEUlmE9_EvS4_mmT0_
; %bb.0:
	s_clause 0x1
	s_load_b32 s2, s[0:1], 0x2c
	s_load_b128 s[4:7], s[0:1], 0x0
	s_waitcnt lgkmcnt(0)
	s_and_b32 s2, s2, 0xffff
	s_delay_alu instid0(SALU_CYCLE_1) | instskip(SKIP_2) | instid1(VALU_DEP_1)
	v_mad_u64_u32 v[1:2], null, s15, s2, v[0:1]
	v_mov_b32_e32 v2, 0
	s_mov_b32 s2, exec_lo
	v_cmpx_gt_u64_e64 s[6:7], v[1:2]
	s_cbranch_execz .LBB21_6
; %bb.1:
	s_clause 0x1
	s_load_b64 s[2:3], s[0:1], 0x10
	s_load_b32 s0, s[0:1], 0x18
	s_waitcnt lgkmcnt(0)
	v_add_co_u32 v0, s1, v1, s2
	s_delay_alu instid0(VALU_DEP_1) | instskip(NEXT) | instid1(VALU_DEP_2)
	v_add_co_ci_u32_e64 v1, null, 0, s3, s1
	v_add_nc_u32_e32 v6, s0, v0
	s_mov_b32 s0, 0xb90ffb1d
	s_delay_alu instid0(VALU_DEP_1) | instid1(SALU_CYCLE_1)
	v_mad_u64_u32 v[2:3], null, v6, s0, 0xdc6d3ef
	v_mad_u64_u32 v[3:4], null, 0x10dcd, v6, 1
	s_mov_b32 s0, 0x6ab9d291
	s_delay_alu instid0(VALU_DEP_2) | instskip(NEXT) | instid1(VALU_DEP_2)
	v_lshrrev_b32_e32 v5, 2, v2
	v_lshlrev_b32_e32 v7, 4, v3
	s_delay_alu instid0(VALU_DEP_2) | instskip(SKIP_2) | instid1(VALU_DEP_2)
	v_xor_b32_e32 v2, v5, v2
	v_mad_u64_u32 v[4:5], null, v6, s0, 0xffffffffdfb3c992
	s_mov_b32 s0, exec_lo
	v_lshlrev_b32_e32 v5, 1, v2
	s_delay_alu instid0(VALU_DEP_2) | instskip(NEXT) | instid1(VALU_DEP_2)
	v_lshrrev_b32_e32 v8, 2, v4
	v_xor_b32_e32 v5, v7, v5
	s_delay_alu instid0(VALU_DEP_2) | instskip(NEXT) | instid1(VALU_DEP_2)
	v_xor_b32_e32 v7, v8, v4
	v_xor3_b32 v3, v5, v3, v2
                                        ; implicit-def: $vgpr5
	s_delay_alu instid0(VALU_DEP_2) | instskip(NEXT) | instid1(VALU_DEP_2)
	v_lshlrev_b32_e32 v2, 1, v7
	v_lshlrev_b32_e32 v4, 4, v3
	s_delay_alu instid0(VALU_DEP_1) | instskip(SKIP_1) | instid1(VALU_DEP_2)
	v_xor_b32_e32 v2, v2, v4
	v_xor_b32_e32 v4, 0x587c5, v6
                                        ; implicit-def: $vgpr6
	v_xor3_b32 v2, v2, v7, v3
	s_delay_alu instid0(VALU_DEP_1) | instskip(NEXT) | instid1(VALU_DEP_1)
	v_add3_u32 v2, v4, v2, 0xb0f8a
	v_cvt_f32_u32_e32 v2, v2
	s_delay_alu instid0(VALU_DEP_1) | instskip(NEXT) | instid1(VALU_DEP_1)
	v_mul_f32_e32 v2, 0x2f800000, v2
	v_mul_f32_e32 v2, 0x40c90fdb, v2
	s_delay_alu instid0(VALU_DEP_1)
	v_cmpx_ngt_f32_e32 0x48000000, v2
	s_xor_b32 s3, exec_lo, s0
	s_cbranch_execz .LBB21_3
; %bb.2:
	s_mov_b32 s0, 0x7fffff
	v_mov_b32_e32 v7, 0
	v_and_or_b32 v15, v2, s0, 0x800000
	v_lshrrev_b32_e32 v12, 23, v2
	s_delay_alu instid0(VALU_DEP_2) | instskip(NEXT) | instid1(VALU_DEP_2)
	v_mad_u64_u32 v[5:6], null, 0xfe5163ab, v15, 0
	v_add_nc_u32_e32 v13, 0xffffff88, v12
	s_delay_alu instid0(VALU_DEP_1) | instskip(NEXT) | instid1(VALU_DEP_3)
	v_cmp_lt_u32_e32 vcc_lo, 63, v13
	v_mad_u64_u32 v[8:9], null, 0x3c439041, v15, v[6:7]
	v_cndmask_b32_e64 v14, 0, 0xffffffc0, vcc_lo
	s_delay_alu instid0(VALU_DEP_2) | instskip(NEXT) | instid1(VALU_DEP_2)
	v_mov_b32_e32 v6, v9
	v_add_nc_u32_e32 v14, v14, v13
	s_delay_alu instid0(VALU_DEP_2) | instskip(NEXT) | instid1(VALU_DEP_2)
	v_mad_u64_u32 v[9:10], null, 0xdb629599, v15, v[6:7]
	v_cmp_lt_u32_e64 s0, 31, v14
	s_delay_alu instid0(VALU_DEP_1) | instskip(NEXT) | instid1(VALU_DEP_3)
	v_cndmask_b32_e64 v16, 0, 0xffffffe0, s0
	v_dual_mov_b32 v6, v10 :: v_dual_cndmask_b32 v5, v9, v5
	s_delay_alu instid0(VALU_DEP_2) | instskip(NEXT) | instid1(VALU_DEP_2)
	v_add_nc_u32_e32 v16, v16, v14
	v_mad_u64_u32 v[10:11], null, 0xf534ddc0, v15, v[6:7]
	s_delay_alu instid0(VALU_DEP_2) | instskip(NEXT) | instid1(VALU_DEP_2)
	v_cmp_lt_u32_e64 s1, 31, v16
	v_mov_b32_e32 v6, v11
	s_delay_alu instid0(VALU_DEP_3) | instskip(NEXT) | instid1(VALU_DEP_2)
	v_cndmask_b32_e32 v8, v10, v8, vcc_lo
	v_mad_u64_u32 v[11:12], null, 0xfc2757d1, v15, v[6:7]
	s_delay_alu instid0(VALU_DEP_2) | instskip(NEXT) | instid1(VALU_DEP_2)
	v_cndmask_b32_e64 v5, v8, v5, s0
	v_mov_b32_e32 v6, v12
	s_delay_alu instid0(VALU_DEP_1) | instskip(NEXT) | instid1(VALU_DEP_1)
	v_mad_u64_u32 v[12:13], null, 0x4e441529, v15, v[6:7]
	v_mov_b32_e32 v6, v13
	s_delay_alu instid0(VALU_DEP_1) | instskip(SKIP_1) | instid1(VALU_DEP_1)
	v_mad_u64_u32 v[13:14], null, 0xa2f9836e, v15, v[6:7]
	v_cndmask_b32_e64 v6, 0, 0xffffffe0, s1
	v_dual_cndmask_b32 v7, v12, v10 :: v_dual_add_nc_u32 v6, v6, v16
	s_delay_alu instid0(VALU_DEP_3) | instskip(NEXT) | instid1(VALU_DEP_4)
	v_cndmask_b32_e32 v13, v13, v11, vcc_lo
	v_dual_cndmask_b32 v11, v11, v9 :: v_dual_cndmask_b32 v12, v14, v12
	s_delay_alu instid0(VALU_DEP_3) | instskip(NEXT) | instid1(VALU_DEP_3)
	v_cmp_eq_u32_e64 s2, 0, v6
	v_cndmask_b32_e64 v10, v13, v7, s0
	s_delay_alu instid0(VALU_DEP_3) | instskip(NEXT) | instid1(VALU_DEP_4)
	v_cndmask_b32_e64 v7, v7, v11, s0
	v_cndmask_b32_e64 v12, v12, v13, s0
	v_sub_nc_u32_e32 v13, 32, v6
	v_cndmask_b32_e64 v11, v11, v8, s0
	s_delay_alu instid0(VALU_DEP_3) | instskip(SKIP_1) | instid1(VALU_DEP_3)
	v_cndmask_b32_e64 v12, v12, v10, s1
	v_cndmask_b32_e64 v10, v10, v7, s1
	;; [unrolled: 1-line block ×4, first 2 shown]
	s_delay_alu instid0(VALU_DEP_3) | instskip(NEXT) | instid1(VALU_DEP_3)
	v_alignbit_b32 v14, v12, v10, v13
	v_alignbit_b32 v15, v10, v7, v13
	s_delay_alu instid0(VALU_DEP_3) | instskip(NEXT) | instid1(VALU_DEP_3)
	v_alignbit_b32 v13, v7, v5, v13
	v_cndmask_b32_e64 v6, v14, v12, s2
	s_delay_alu instid0(VALU_DEP_3) | instskip(NEXT) | instid1(VALU_DEP_3)
	v_cndmask_b32_e64 v9, v15, v10, s2
	v_cndmask_b32_e64 v7, v13, v7, s2
	s_delay_alu instid0(VALU_DEP_3) | instskip(NEXT) | instid1(VALU_DEP_3)
	v_bfe_u32 v10, v6, 29, 1
	v_alignbit_b32 v8, v6, v9, 30
	s_delay_alu instid0(VALU_DEP_3) | instskip(SKIP_1) | instid1(VALU_DEP_4)
	v_alignbit_b32 v9, v9, v7, 30
	v_alignbit_b32 v5, v7, v5, 30
	v_sub_nc_u32_e32 v12, 0, v10
	s_delay_alu instid0(VALU_DEP_1) | instskip(SKIP_3) | instid1(VALU_DEP_4)
	v_xor_b32_e32 v11, v8, v12
	v_cmp_ne_u32_e32 vcc_lo, v8, v12
	v_xor_b32_e32 v7, v9, v12
	v_xor_b32_e32 v5, v5, v12
	v_clz_i32_u32_e32 v14, v11
	s_delay_alu instid0(VALU_DEP_1) | instskip(NEXT) | instid1(VALU_DEP_1)
	v_add_nc_u32_e32 v13, 1, v14
	v_cndmask_b32_e32 v8, 33, v13, vcc_lo
	s_delay_alu instid0(VALU_DEP_1) | instskip(NEXT) | instid1(VALU_DEP_1)
	v_sub_nc_u32_e32 v9, 32, v8
	v_alignbit_b32 v11, v11, v7, v9
	v_alignbit_b32 v5, v7, v5, v9
	v_lshrrev_b32_e32 v7, 29, v6
	v_lshrrev_b32_e32 v6, 30, v6
	s_delay_alu instid0(VALU_DEP_3) | instskip(NEXT) | instid1(VALU_DEP_3)
	v_alignbit_b32 v9, v11, v5, 9
	v_lshlrev_b32_e32 v7, 31, v7
	v_alignbit_b32 v11, v8, v11, 9
	s_delay_alu instid0(VALU_DEP_4) | instskip(NEXT) | instid1(VALU_DEP_4)
	v_add_nc_u32_e32 v6, v10, v6
	v_clz_i32_u32_e32 v12, v9
	s_delay_alu instid0(VALU_DEP_3) | instskip(SKIP_1) | instid1(VALU_DEP_3)
	v_or_b32_e32 v11, v11, v7
	v_or_b32_e32 v7, 0x33800000, v7
	v_min_u32_e32 v12, 32, v12
	s_delay_alu instid0(VALU_DEP_3) | instskip(NEXT) | instid1(VALU_DEP_2)
	v_xor_b32_e32 v11, 1.0, v11
	v_sub_nc_u32_e32 v13, 31, v12
	v_add_lshl_u32 v8, v12, v8, 23
	s_delay_alu instid0(VALU_DEP_3) | instskip(NEXT) | instid1(VALU_DEP_3)
	v_mul_f32_e32 v12, 0x3fc90fda, v11
	v_alignbit_b32 v5, v9, v5, v13
	s_delay_alu instid0(VALU_DEP_3) | instskip(NEXT) | instid1(VALU_DEP_3)
	v_sub_nc_u32_e32 v7, v7, v8
	v_fma_f32 v8, 0x3fc90fda, v11, -v12
	s_delay_alu instid0(VALU_DEP_3) | instskip(NEXT) | instid1(VALU_DEP_2)
	v_lshrrev_b32_e32 v5, 9, v5
	v_fmamk_f32 v8, v11, 0x33a22168, v8
	s_delay_alu instid0(VALU_DEP_2) | instskip(NEXT) | instid1(VALU_DEP_1)
	v_or_b32_e32 v5, v7, v5
	v_fmac_f32_e32 v8, 0x3fc90fda, v5
	s_delay_alu instid0(VALU_DEP_1)
	v_add_f32_e32 v5, v12, v8
.LBB21_3:
	s_and_not1_saveexec_b32 s0, s3
; %bb.4:
	v_mul_f32_e32 v5, 0x3f22f983, v2
	s_delay_alu instid0(VALU_DEP_1) | instskip(NEXT) | instid1(VALU_DEP_1)
	v_rndne_f32_e32 v6, v5
	v_fmamk_f32 v5, v6, 0xbfc90fda, v2
	s_delay_alu instid0(VALU_DEP_1) | instskip(NEXT) | instid1(VALU_DEP_1)
	v_fmamk_f32 v5, v6, 0xb3a22168, v5
	v_fmamk_f32 v5, v6, 0xa7c234c4, v5
	v_cvt_i32_f32_e32 v6, v6
; %bb.5:
	s_or_b32 exec_lo, exec_lo, s0
	v_add3_u32 v3, v4, v3, 0x587c5
	s_delay_alu instid0(VALU_DEP_2) | instskip(SKIP_4) | instid1(VALU_DEP_1)
	v_and_b32_e32 v13, 1, v6
	s_mov_b32 s1, 0x37d75334
	s_mov_b32 s0, 0xb94c1982
	v_lshlrev_b64 v[0:1], 3, v[0:1]
	v_cvt_f32_u32_e32 v3, v3
	v_dual_mul_f32 v3, 0x2f800000, v3 :: v_dual_lshlrev_b32 v6, 30, v6
	s_delay_alu instid0(VALU_DEP_1) | instskip(NEXT) | instid1(VALU_DEP_2)
	v_and_b32_e32 v6, 0x80000000, v6
	v_cmp_ngt_f32_e32 vcc_lo, 0x2edbe6ff, v3
	v_cndmask_b32_e32 v3, 0x2edbe6ff, v3, vcc_lo
	s_delay_alu instid0(VALU_DEP_1) | instskip(SKIP_1) | instid1(VALU_DEP_1)
	v_cmp_gt_f32_e32 vcc_lo, 0x800000, v3
	v_cndmask_b32_e64 v4, 1.0, 0x4f800000, vcc_lo
	v_mul_f32_e32 v3, v3, v4
	s_delay_alu instid0(VALU_DEP_1) | instskip(SKIP_2) | instid1(VALU_DEP_1)
	v_log_f32_e32 v3, v3
	s_waitcnt_depctr 0xfff
	v_mul_f32_e32 v4, 0x3f317217, v3
	v_fma_f32 v7, 0x3f317217, v3, -v4
	s_delay_alu instid0(VALU_DEP_1) | instskip(NEXT) | instid1(VALU_DEP_1)
	v_fmamk_f32 v7, v3, 0x3377d1cf, v7
	v_add_f32_e32 v4, v4, v7
	v_cndmask_b32_e64 v7, 0, 0x41b17218, vcc_lo
	v_cmp_gt_f32_e64 vcc_lo, 0x7f800000, |v3|
	s_delay_alu instid0(VALU_DEP_3) | instskip(NEXT) | instid1(VALU_DEP_1)
	v_cndmask_b32_e32 v3, v3, v4, vcc_lo
	v_sub_f32_e32 v3, v3, v7
	v_mul_f32_e32 v7, v5, v5
	s_delay_alu instid0(VALU_DEP_1) | instskip(NEXT) | instid1(VALU_DEP_3)
	v_fmaak_f32 v10, s1, v7, 0xbab64f3b
	v_mul_f32_e32 v3, -2.0, v3
	v_fmaak_f32 v9, s0, v7, 0x3c0881c4
	s_delay_alu instid0(VALU_DEP_3) | instskip(NEXT) | instid1(VALU_DEP_3)
	v_fmaak_f32 v10, v7, v10, 0x3d2aabf7
	v_mul_f32_e32 v4, 0x4f800000, v3
	v_cmp_gt_f32_e32 vcc_lo, 0xf800000, v3
	s_delay_alu instid0(VALU_DEP_4) | instskip(NEXT) | instid1(VALU_DEP_3)
	v_fmaak_f32 v9, v7, v9, 0xbe2aaa9d
	v_cndmask_b32_e32 v3, v3, v4, vcc_lo
	s_delay_alu instid0(VALU_DEP_1) | instskip(SKIP_3) | instid1(VALU_DEP_2)
	v_sqrt_f32_e32 v4, v3
	s_waitcnt_depctr 0xfff
	v_add_nc_u32_e32 v8, -1, v4
	v_add_nc_u32_e32 v11, 1, v4
	v_fma_f32 v12, -v8, v4, v3
	s_delay_alu instid0(VALU_DEP_2) | instskip(NEXT) | instid1(VALU_DEP_2)
	v_fma_f32 v14, -v11, v4, v3
	v_cmp_ge_f32_e64 s0, 0, v12
	s_delay_alu instid0(VALU_DEP_1) | instskip(NEXT) | instid1(VALU_DEP_3)
	v_cndmask_b32_e64 v4, v4, v8, s0
	v_cmp_lt_f32_e64 s0, 0, v14
	v_mul_f32_e32 v8, v7, v9
	v_fmaak_f32 v9, v7, v10, 0xbf000004
	s_delay_alu instid0(VALU_DEP_3) | instskip(NEXT) | instid1(VALU_DEP_3)
	v_cndmask_b32_e64 v4, v4, v11, s0
	v_fmac_f32_e32 v5, v5, v8
	s_delay_alu instid0(VALU_DEP_3) | instskip(NEXT) | instid1(VALU_DEP_3)
	v_fma_f32 v7, v7, v9, 1.0
	v_mul_f32_e32 v8, 0x37800000, v4
	s_delay_alu instid0(VALU_DEP_1) | instskip(SKIP_2) | instid1(VALU_DEP_2)
	v_cndmask_b32_e32 v4, v4, v8, vcc_lo
	v_cmp_eq_u32_e64 s0, 0, v13
	v_cmp_class_f32_e64 vcc_lo, v3, 0x260
	v_cndmask_b32_e64 v5, -v5, v7, s0
	s_delay_alu instid0(VALU_DEP_4) | instskip(SKIP_1) | instid1(VALU_DEP_3)
	v_cndmask_b32_e32 v3, v4, v3, vcc_lo
	v_cmp_lg_f32_e32 vcc_lo, 0x7f800000, v2
	v_xor_b32_e32 v5, v6, v5
	s_delay_alu instid0(VALU_DEP_1) | instskip(SKIP_2) | instid1(VALU_DEP_3)
	v_cndmask_b32_e32 v2, 0x7fc00000, v5, vcc_lo
	v_add_co_u32 v0, vcc_lo, s4, v0
	v_add_co_ci_u32_e32 v1, vcc_lo, s5, v1, vcc_lo
	v_mul_f32_e32 v2, v3, v2
	s_delay_alu instid0(VALU_DEP_1)
	v_cvt_f64_f32_e32 v[2:3], v2
	global_store_b64 v[0:1], v[2:3], off
.LBB21_6:
	s_nop 0
	s_sendmsg sendmsg(MSG_DEALLOC_VGPRS)
	s_endpgm
	.section	.rodata,"a",@progbits
	.p2align	6, 0x0
	.amdhsa_kernel _Z11fill_kernelIdZ21hipblaslt_init_deviceIdEv8ABC_dims24hipblaslt_initializationbPT_mmmmmEUlmE9_EvS4_mmT0_
		.amdhsa_group_segment_fixed_size 0
		.amdhsa_private_segment_fixed_size 0
		.amdhsa_kernarg_size 288
		.amdhsa_user_sgpr_count 15
		.amdhsa_user_sgpr_dispatch_ptr 0
		.amdhsa_user_sgpr_queue_ptr 0
		.amdhsa_user_sgpr_kernarg_segment_ptr 1
		.amdhsa_user_sgpr_dispatch_id 0
		.amdhsa_user_sgpr_private_segment_size 0
		.amdhsa_wavefront_size32 1
		.amdhsa_uses_dynamic_stack 0
		.amdhsa_enable_private_segment 0
		.amdhsa_system_sgpr_workgroup_id_x 1
		.amdhsa_system_sgpr_workgroup_id_y 0
		.amdhsa_system_sgpr_workgroup_id_z 0
		.amdhsa_system_sgpr_workgroup_info 0
		.amdhsa_system_vgpr_workitem_id 0
		.amdhsa_next_free_vgpr 17
		.amdhsa_next_free_sgpr 16
		.amdhsa_reserve_vcc 1
		.amdhsa_float_round_mode_32 0
		.amdhsa_float_round_mode_16_64 0
		.amdhsa_float_denorm_mode_32 3
		.amdhsa_float_denorm_mode_16_64 3
		.amdhsa_dx10_clamp 1
		.amdhsa_ieee_mode 1
		.amdhsa_fp16_overflow 0
		.amdhsa_workgroup_processor_mode 1
		.amdhsa_memory_ordered 1
		.amdhsa_forward_progress 0
		.amdhsa_shared_vgpr_count 0
		.amdhsa_exception_fp_ieee_invalid_op 0
		.amdhsa_exception_fp_denorm_src 0
		.amdhsa_exception_fp_ieee_div_zero 0
		.amdhsa_exception_fp_ieee_overflow 0
		.amdhsa_exception_fp_ieee_underflow 0
		.amdhsa_exception_fp_ieee_inexact 0
		.amdhsa_exception_int_div_zero 0
	.end_amdhsa_kernel
	.section	.text._Z11fill_kernelIdZ21hipblaslt_init_deviceIdEv8ABC_dims24hipblaslt_initializationbPT_mmmmmEUlmE9_EvS4_mmT0_,"axG",@progbits,_Z11fill_kernelIdZ21hipblaslt_init_deviceIdEv8ABC_dims24hipblaslt_initializationbPT_mmmmmEUlmE9_EvS4_mmT0_,comdat
.Lfunc_end21:
	.size	_Z11fill_kernelIdZ21hipblaslt_init_deviceIdEv8ABC_dims24hipblaslt_initializationbPT_mmmmmEUlmE9_EvS4_mmT0_, .Lfunc_end21-_Z11fill_kernelIdZ21hipblaslt_init_deviceIdEv8ABC_dims24hipblaslt_initializationbPT_mmmmmEUlmE9_EvS4_mmT0_
                                        ; -- End function
	.section	.AMDGPU.csdata,"",@progbits
; Kernel info:
; codeLenInByte = 1580
; NumSgprs: 18
; NumVgprs: 17
; ScratchSize: 0
; MemoryBound: 0
; FloatMode: 240
; IeeeMode: 1
; LDSByteSize: 0 bytes/workgroup (compile time only)
; SGPRBlocks: 2
; VGPRBlocks: 2
; NumSGPRsForWavesPerEU: 18
; NumVGPRsForWavesPerEU: 17
; Occupancy: 16
; WaveLimiterHint : 0
; COMPUTE_PGM_RSRC2:SCRATCH_EN: 0
; COMPUTE_PGM_RSRC2:USER_SGPR: 15
; COMPUTE_PGM_RSRC2:TRAP_HANDLER: 0
; COMPUTE_PGM_RSRC2:TGID_X_EN: 1
; COMPUTE_PGM_RSRC2:TGID_Y_EN: 0
; COMPUTE_PGM_RSRC2:TGID_Z_EN: 0
; COMPUTE_PGM_RSRC2:TIDIG_COMP_CNT: 0
	.section	.text._Z11fill_kernelIDF16_Z21hipblaslt_init_deviceIDF16_Ev8ABC_dims24hipblaslt_initializationbPT_mmmmmEUlmE_EvS4_mmT0_,"axG",@progbits,_Z11fill_kernelIDF16_Z21hipblaslt_init_deviceIDF16_Ev8ABC_dims24hipblaslt_initializationbPT_mmmmmEUlmE_EvS4_mmT0_,comdat
	.protected	_Z11fill_kernelIDF16_Z21hipblaslt_init_deviceIDF16_Ev8ABC_dims24hipblaslt_initializationbPT_mmmmmEUlmE_EvS4_mmT0_ ; -- Begin function _Z11fill_kernelIDF16_Z21hipblaslt_init_deviceIDF16_Ev8ABC_dims24hipblaslt_initializationbPT_mmmmmEUlmE_EvS4_mmT0_
	.globl	_Z11fill_kernelIDF16_Z21hipblaslt_init_deviceIDF16_Ev8ABC_dims24hipblaslt_initializationbPT_mmmmmEUlmE_EvS4_mmT0_
	.p2align	8
	.type	_Z11fill_kernelIDF16_Z21hipblaslt_init_deviceIDF16_Ev8ABC_dims24hipblaslt_initializationbPT_mmmmmEUlmE_EvS4_mmT0_,@function
_Z11fill_kernelIDF16_Z21hipblaslt_init_deviceIDF16_Ev8ABC_dims24hipblaslt_initializationbPT_mmmmmEUlmE_EvS4_mmT0_: ; @_Z11fill_kernelIDF16_Z21hipblaslt_init_deviceIDF16_Ev8ABC_dims24hipblaslt_initializationbPT_mmmmmEUlmE_EvS4_mmT0_
; %bb.0:
	s_clause 0x1
	s_load_b32 s2, s[0:1], 0xec
	s_load_b128 s[4:7], s[0:1], 0x0
	s_waitcnt lgkmcnt(0)
	s_and_b32 s2, s2, 0xffff
	s_delay_alu instid0(SALU_CYCLE_1) | instskip(SKIP_2) | instid1(VALU_DEP_1)
	v_mad_u64_u32 v[1:2], null, s15, s2, v[0:1]
	v_mov_b32_e32 v2, 0
	s_mov_b32 s2, exec_lo
	v_cmpx_gt_u64_e64 s[6:7], v[1:2]
	s_cbranch_execz .LBB22_2
; %bb.1:
	s_load_b64 s[2:3], s[0:1], 0x10
	s_mov_b32 s6, 0x19660d
	s_waitcnt lgkmcnt(0)
	v_add_co_u32 v0, s2, v1, s2
	s_delay_alu instid0(VALU_DEP_1) | instskip(NEXT) | instid1(VALU_DEP_2)
	v_add_co_ci_u32_e64 v1, null, 0, s3, s2
	v_mad_u64_u32 v[2:3], null, v0, s6, 0x3c6ef35f
	s_delay_alu instid0(VALU_DEP_1) | instskip(SKIP_1) | instid1(VALU_DEP_1)
	v_mad_u64_u32 v[4:5], null, 0x19660d, v1, v[3:4]
	v_lshlrev_b64 v[0:1], 1, v[0:1]
	v_add_co_u32 v0, vcc_lo, s4, v0
	s_delay_alu instid0(VALU_DEP_3) | instskip(NEXT) | instid1(VALU_DEP_3)
	v_mov_b32_e32 v3, v4
	v_add_co_ci_u32_e32 v1, vcc_lo, s5, v1, vcc_lo
	s_delay_alu instid0(VALU_DEP_2) | instskip(NEXT) | instid1(VALU_DEP_1)
	v_lshlrev_b64 v[4:5], 13, v[2:3]
	v_xor_b32_e32 v3, v5, v3
	s_delay_alu instid0(VALU_DEP_2) | instskip(NEXT) | instid1(VALU_DEP_1)
	v_xor_b32_e32 v2, v4, v2
	v_lshrrev_b64 v[4:5], 17, v[2:3]
	s_delay_alu instid0(VALU_DEP_1) | instskip(NEXT) | instid1(VALU_DEP_2)
	v_xor_b32_e32 v3, v5, v3
	v_xor_b32_e32 v2, v4, v2
	s_delay_alu instid0(VALU_DEP_1) | instskip(NEXT) | instid1(VALU_DEP_1)
	v_lshlrev_b64 v[4:5], 5, v[2:3]
	v_xor_b32_e32 v3, v5, v3
	s_delay_alu instid0(VALU_DEP_2) | instskip(NEXT) | instid1(VALU_DEP_1)
	v_xor_b32_e32 v2, v4, v2
	v_lshlrev_b64 v[4:5], 13, v[2:3]
	s_delay_alu instid0(VALU_DEP_1) | instskip(NEXT) | instid1(VALU_DEP_2)
	v_xor_b32_e32 v3, v5, v3
	v_xor_b32_e32 v2, v4, v2
	s_delay_alu instid0(VALU_DEP_1) | instskip(NEXT) | instid1(VALU_DEP_1)
	v_lshrrev_b64 v[4:5], 17, v[2:3]
	v_xor_b32_e32 v3, v5, v3
	s_delay_alu instid0(VALU_DEP_2) | instskip(NEXT) | instid1(VALU_DEP_1)
	v_xor_b32_e32 v2, v4, v2
	v_lshlrev_b64 v[4:5], 5, v[2:3]
	s_delay_alu instid0(VALU_DEP_1) | instskip(NEXT) | instid1(VALU_DEP_2)
	v_xor_b32_e32 v3, v5, v3
	v_xor_b32_e32 v2, v4, v2
	s_delay_alu instid0(VALU_DEP_1) | instskip(NEXT) | instid1(VALU_DEP_1)
	v_lshlrev_b64 v[4:5], 13, v[2:3]
	v_xor_b32_e32 v3, v5, v3
	s_delay_alu instid0(VALU_DEP_2) | instskip(NEXT) | instid1(VALU_DEP_1)
	v_xor_b32_e32 v2, v4, v2
	v_alignbit_b32 v3, v3, v2, 17
	s_delay_alu instid0(VALU_DEP_1) | instskip(NEXT) | instid1(VALU_DEP_1)
	v_xor_b32_e32 v2, v3, v2
	v_lshlrev_b32_e32 v3, 5, v2
	s_delay_alu instid0(VALU_DEP_1) | instskip(NEXT) | instid1(VALU_DEP_1)
	v_xor_b32_e32 v2, v3, v2
	v_mul_hi_u32 v3, 0x51eb851f, v2
	s_delay_alu instid0(VALU_DEP_1) | instskip(NEXT) | instid1(VALU_DEP_1)
	v_lshrrev_b32_e32 v3, 5, v3
	v_mul_lo_u32 v3, 0x64, v3
	s_delay_alu instid0(VALU_DEP_1) | instskip(NEXT) | instid1(VALU_DEP_1)
	v_sub_nc_u32_e32 v2, v2, v3
	v_lshlrev_b32_e32 v2, 1, v2
	global_load_u16 v2, v2, s[0:1] offset:24
	s_waitcnt vmcnt(0)
	global_store_b16 v[0:1], v2, off
.LBB22_2:
	s_nop 0
	s_sendmsg sendmsg(MSG_DEALLOC_VGPRS)
	s_endpgm
	.section	.rodata,"a",@progbits
	.p2align	6, 0x0
	.amdhsa_kernel _Z11fill_kernelIDF16_Z21hipblaslt_init_deviceIDF16_Ev8ABC_dims24hipblaslt_initializationbPT_mmmmmEUlmE_EvS4_mmT0_
		.amdhsa_group_segment_fixed_size 0
		.amdhsa_private_segment_fixed_size 0
		.amdhsa_kernarg_size 480
		.amdhsa_user_sgpr_count 15
		.amdhsa_user_sgpr_dispatch_ptr 0
		.amdhsa_user_sgpr_queue_ptr 0
		.amdhsa_user_sgpr_kernarg_segment_ptr 1
		.amdhsa_user_sgpr_dispatch_id 0
		.amdhsa_user_sgpr_private_segment_size 0
		.amdhsa_wavefront_size32 1
		.amdhsa_uses_dynamic_stack 0
		.amdhsa_enable_private_segment 0
		.amdhsa_system_sgpr_workgroup_id_x 1
		.amdhsa_system_sgpr_workgroup_id_y 0
		.amdhsa_system_sgpr_workgroup_id_z 0
		.amdhsa_system_sgpr_workgroup_info 0
		.amdhsa_system_vgpr_workitem_id 0
		.amdhsa_next_free_vgpr 6
		.amdhsa_next_free_sgpr 16
		.amdhsa_reserve_vcc 1
		.amdhsa_float_round_mode_32 0
		.amdhsa_float_round_mode_16_64 0
		.amdhsa_float_denorm_mode_32 3
		.amdhsa_float_denorm_mode_16_64 3
		.amdhsa_dx10_clamp 1
		.amdhsa_ieee_mode 1
		.amdhsa_fp16_overflow 0
		.amdhsa_workgroup_processor_mode 1
		.amdhsa_memory_ordered 1
		.amdhsa_forward_progress 0
		.amdhsa_shared_vgpr_count 0
		.amdhsa_exception_fp_ieee_invalid_op 0
		.amdhsa_exception_fp_denorm_src 0
		.amdhsa_exception_fp_ieee_div_zero 0
		.amdhsa_exception_fp_ieee_overflow 0
		.amdhsa_exception_fp_ieee_underflow 0
		.amdhsa_exception_fp_ieee_inexact 0
		.amdhsa_exception_int_div_zero 0
	.end_amdhsa_kernel
	.section	.text._Z11fill_kernelIDF16_Z21hipblaslt_init_deviceIDF16_Ev8ABC_dims24hipblaslt_initializationbPT_mmmmmEUlmE_EvS4_mmT0_,"axG",@progbits,_Z11fill_kernelIDF16_Z21hipblaslt_init_deviceIDF16_Ev8ABC_dims24hipblaslt_initializationbPT_mmmmmEUlmE_EvS4_mmT0_,comdat
.Lfunc_end22:
	.size	_Z11fill_kernelIDF16_Z21hipblaslt_init_deviceIDF16_Ev8ABC_dims24hipblaslt_initializationbPT_mmmmmEUlmE_EvS4_mmT0_, .Lfunc_end22-_Z11fill_kernelIDF16_Z21hipblaslt_init_deviceIDF16_Ev8ABC_dims24hipblaslt_initializationbPT_mmmmmEUlmE_EvS4_mmT0_
                                        ; -- End function
	.section	.AMDGPU.csdata,"",@progbits
; Kernel info:
; codeLenInByte = 420
; NumSgprs: 18
; NumVgprs: 6
; ScratchSize: 0
; MemoryBound: 0
; FloatMode: 240
; IeeeMode: 1
; LDSByteSize: 0 bytes/workgroup (compile time only)
; SGPRBlocks: 2
; VGPRBlocks: 0
; NumSGPRsForWavesPerEU: 18
; NumVGPRsForWavesPerEU: 6
; Occupancy: 16
; WaveLimiterHint : 0
; COMPUTE_PGM_RSRC2:SCRATCH_EN: 0
; COMPUTE_PGM_RSRC2:USER_SGPR: 15
; COMPUTE_PGM_RSRC2:TRAP_HANDLER: 0
; COMPUTE_PGM_RSRC2:TGID_X_EN: 1
; COMPUTE_PGM_RSRC2:TGID_Y_EN: 0
; COMPUTE_PGM_RSRC2:TGID_Z_EN: 0
; COMPUTE_PGM_RSRC2:TIDIG_COMP_CNT: 0
	.section	.text._Z11fill_kernelIDF16_Z21hipblaslt_init_deviceIDF16_Ev8ABC_dims24hipblaslt_initializationbPT_mmmmmEUlmE0_EvS4_mmT0_,"axG",@progbits,_Z11fill_kernelIDF16_Z21hipblaslt_init_deviceIDF16_Ev8ABC_dims24hipblaslt_initializationbPT_mmmmmEUlmE0_EvS4_mmT0_,comdat
	.protected	_Z11fill_kernelIDF16_Z21hipblaslt_init_deviceIDF16_Ev8ABC_dims24hipblaslt_initializationbPT_mmmmmEUlmE0_EvS4_mmT0_ ; -- Begin function _Z11fill_kernelIDF16_Z21hipblaslt_init_deviceIDF16_Ev8ABC_dims24hipblaslt_initializationbPT_mmmmmEUlmE0_EvS4_mmT0_
	.globl	_Z11fill_kernelIDF16_Z21hipblaslt_init_deviceIDF16_Ev8ABC_dims24hipblaslt_initializationbPT_mmmmmEUlmE0_EvS4_mmT0_
	.p2align	8
	.type	_Z11fill_kernelIDF16_Z21hipblaslt_init_deviceIDF16_Ev8ABC_dims24hipblaslt_initializationbPT_mmmmmEUlmE0_EvS4_mmT0_,@function
_Z11fill_kernelIDF16_Z21hipblaslt_init_deviceIDF16_Ev8ABC_dims24hipblaslt_initializationbPT_mmmmmEUlmE0_EvS4_mmT0_: ; @_Z11fill_kernelIDF16_Z21hipblaslt_init_deviceIDF16_Ev8ABC_dims24hipblaslt_initializationbPT_mmmmmEUlmE0_EvS4_mmT0_
; %bb.0:
	s_clause 0x1
	s_load_b32 s2, s[0:1], 0x2c
	s_load_b128 s[4:7], s[0:1], 0x0
	s_waitcnt lgkmcnt(0)
	s_and_b32 s2, s2, 0xffff
	s_delay_alu instid0(SALU_CYCLE_1) | instskip(SKIP_2) | instid1(VALU_DEP_1)
	v_mad_u64_u32 v[1:2], null, s15, s2, v[0:1]
	v_mov_b32_e32 v2, 0
	s_mov_b32 s2, exec_lo
	v_cmpx_gt_u64_e64 s[6:7], v[1:2]
	s_cbranch_execz .LBB23_2
; %bb.1:
	s_load_b64 s[0:1], s[0:1], 0x10
	s_mov_b32 s2, 0x19660d
	s_waitcnt lgkmcnt(0)
	v_add_co_u32 v0, s0, v1, s0
	s_delay_alu instid0(VALU_DEP_1) | instskip(NEXT) | instid1(VALU_DEP_2)
	v_add_co_ci_u32_e64 v1, null, 0, s1, s0
	v_mad_u64_u32 v[2:3], null, v0, s2, 0x3c6ef35f
	s_delay_alu instid0(VALU_DEP_1) | instskip(SKIP_1) | instid1(VALU_DEP_1)
	v_mad_u64_u32 v[4:5], null, 0x19660d, v1, v[3:4]
	v_lshlrev_b64 v[0:1], 1, v[0:1]
	v_add_co_u32 v0, vcc_lo, s4, v0
	s_delay_alu instid0(VALU_DEP_3) | instskip(NEXT) | instid1(VALU_DEP_3)
	v_mov_b32_e32 v3, v4
	v_add_co_ci_u32_e32 v1, vcc_lo, s5, v1, vcc_lo
	s_delay_alu instid0(VALU_DEP_2) | instskip(NEXT) | instid1(VALU_DEP_1)
	v_lshlrev_b64 v[4:5], 13, v[2:3]
	v_xor_b32_e32 v3, v5, v3
	s_delay_alu instid0(VALU_DEP_2) | instskip(NEXT) | instid1(VALU_DEP_1)
	v_xor_b32_e32 v2, v4, v2
	v_lshrrev_b64 v[4:5], 17, v[2:3]
	s_delay_alu instid0(VALU_DEP_1) | instskip(NEXT) | instid1(VALU_DEP_2)
	v_xor_b32_e32 v3, v5, v3
	v_xor_b32_e32 v2, v4, v2
	s_delay_alu instid0(VALU_DEP_1) | instskip(NEXT) | instid1(VALU_DEP_1)
	v_lshlrev_b64 v[4:5], 5, v[2:3]
	v_xor_b32_e32 v3, v5, v3
	s_delay_alu instid0(VALU_DEP_2) | instskip(NEXT) | instid1(VALU_DEP_1)
	v_xor_b32_e32 v2, v4, v2
	v_lshlrev_b64 v[4:5], 13, v[2:3]
	s_delay_alu instid0(VALU_DEP_1) | instskip(NEXT) | instid1(VALU_DEP_2)
	v_xor_b32_e32 v3, v5, v3
	v_xor_b32_e32 v2, v4, v2
	s_delay_alu instid0(VALU_DEP_1) | instskip(NEXT) | instid1(VALU_DEP_1)
	v_lshrrev_b64 v[4:5], 17, v[2:3]
	v_xor_b32_e32 v3, v5, v3
	s_delay_alu instid0(VALU_DEP_2) | instskip(NEXT) | instid1(VALU_DEP_1)
	v_xor_b32_e32 v2, v4, v2
	v_lshlrev_b64 v[4:5], 5, v[2:3]
	s_delay_alu instid0(VALU_DEP_1) | instskip(NEXT) | instid1(VALU_DEP_2)
	v_xor_b32_e32 v3, v5, v3
	v_xor_b32_e32 v2, v4, v2
	s_delay_alu instid0(VALU_DEP_1) | instskip(NEXT) | instid1(VALU_DEP_1)
	v_lshlrev_b64 v[4:5], 13, v[2:3]
	v_xor_b32_e32 v3, v5, v3
	s_delay_alu instid0(VALU_DEP_2) | instskip(NEXT) | instid1(VALU_DEP_1)
	v_xor_b32_e32 v2, v4, v2
	v_alignbit_b32 v3, v3, v2, 17
	s_delay_alu instid0(VALU_DEP_1) | instskip(NEXT) | instid1(VALU_DEP_1)
	v_xor_b32_e32 v2, v3, v2
	v_lshlrev_b32_e32 v3, 5, v2
	s_delay_alu instid0(VALU_DEP_1) | instskip(NEXT) | instid1(VALU_DEP_1)
	v_xor_b32_e32 v2, v3, v2
	v_mul_hi_u32 v3, 0xcccccccd, v2
	s_delay_alu instid0(VALU_DEP_1) | instskip(NEXT) | instid1(VALU_DEP_1)
	v_lshrrev_b32_e32 v3, 2, v3
	v_lshl_add_u32 v3, v3, 2, v3
	s_delay_alu instid0(VALU_DEP_1) | instskip(NEXT) | instid1(VALU_DEP_1)
	v_sub_nc_u32_e32 v2, v2, v3
	v_add_nc_u32_e32 v2, -2, v2
	s_delay_alu instid0(VALU_DEP_1) | instskip(NEXT) | instid1(VALU_DEP_1)
	v_cvt_f32_i32_e32 v2, v2
	v_cvt_f16_f32_e32 v2, v2
	global_store_b16 v[0:1], v2, off
.LBB23_2:
	s_nop 0
	s_sendmsg sendmsg(MSG_DEALLOC_VGPRS)
	s_endpgm
	.section	.rodata,"a",@progbits
	.p2align	6, 0x0
	.amdhsa_kernel _Z11fill_kernelIDF16_Z21hipblaslt_init_deviceIDF16_Ev8ABC_dims24hipblaslt_initializationbPT_mmmmmEUlmE0_EvS4_mmT0_
		.amdhsa_group_segment_fixed_size 0
		.amdhsa_private_segment_fixed_size 0
		.amdhsa_kernarg_size 288
		.amdhsa_user_sgpr_count 15
		.amdhsa_user_sgpr_dispatch_ptr 0
		.amdhsa_user_sgpr_queue_ptr 0
		.amdhsa_user_sgpr_kernarg_segment_ptr 1
		.amdhsa_user_sgpr_dispatch_id 0
		.amdhsa_user_sgpr_private_segment_size 0
		.amdhsa_wavefront_size32 1
		.amdhsa_uses_dynamic_stack 0
		.amdhsa_enable_private_segment 0
		.amdhsa_system_sgpr_workgroup_id_x 1
		.amdhsa_system_sgpr_workgroup_id_y 0
		.amdhsa_system_sgpr_workgroup_id_z 0
		.amdhsa_system_sgpr_workgroup_info 0
		.amdhsa_system_vgpr_workitem_id 0
		.amdhsa_next_free_vgpr 6
		.amdhsa_next_free_sgpr 16
		.amdhsa_reserve_vcc 1
		.amdhsa_float_round_mode_32 0
		.amdhsa_float_round_mode_16_64 0
		.amdhsa_float_denorm_mode_32 3
		.amdhsa_float_denorm_mode_16_64 3
		.amdhsa_dx10_clamp 1
		.amdhsa_ieee_mode 1
		.amdhsa_fp16_overflow 0
		.amdhsa_workgroup_processor_mode 1
		.amdhsa_memory_ordered 1
		.amdhsa_forward_progress 0
		.amdhsa_shared_vgpr_count 0
		.amdhsa_exception_fp_ieee_invalid_op 0
		.amdhsa_exception_fp_denorm_src 0
		.amdhsa_exception_fp_ieee_div_zero 0
		.amdhsa_exception_fp_ieee_overflow 0
		.amdhsa_exception_fp_ieee_underflow 0
		.amdhsa_exception_fp_ieee_inexact 0
		.amdhsa_exception_int_div_zero 0
	.end_amdhsa_kernel
	.section	.text._Z11fill_kernelIDF16_Z21hipblaslt_init_deviceIDF16_Ev8ABC_dims24hipblaslt_initializationbPT_mmmmmEUlmE0_EvS4_mmT0_,"axG",@progbits,_Z11fill_kernelIDF16_Z21hipblaslt_init_deviceIDF16_Ev8ABC_dims24hipblaslt_initializationbPT_mmmmmEUlmE0_EvS4_mmT0_,comdat
.Lfunc_end23:
	.size	_Z11fill_kernelIDF16_Z21hipblaslt_init_deviceIDF16_Ev8ABC_dims24hipblaslt_initializationbPT_mmmmmEUlmE0_EvS4_mmT0_, .Lfunc_end23-_Z11fill_kernelIDF16_Z21hipblaslt_init_deviceIDF16_Ev8ABC_dims24hipblaslt_initializationbPT_mmmmmEUlmE0_EvS4_mmT0_
                                        ; -- End function
	.section	.AMDGPU.csdata,"",@progbits
; Kernel info:
; codeLenInByte = 416
; NumSgprs: 18
; NumVgprs: 6
; ScratchSize: 0
; MemoryBound: 0
; FloatMode: 240
; IeeeMode: 1
; LDSByteSize: 0 bytes/workgroup (compile time only)
; SGPRBlocks: 2
; VGPRBlocks: 0
; NumSGPRsForWavesPerEU: 18
; NumVGPRsForWavesPerEU: 6
; Occupancy: 16
; WaveLimiterHint : 0
; COMPUTE_PGM_RSRC2:SCRATCH_EN: 0
; COMPUTE_PGM_RSRC2:USER_SGPR: 15
; COMPUTE_PGM_RSRC2:TRAP_HANDLER: 0
; COMPUTE_PGM_RSRC2:TGID_X_EN: 1
; COMPUTE_PGM_RSRC2:TGID_Y_EN: 0
; COMPUTE_PGM_RSRC2:TGID_Z_EN: 0
; COMPUTE_PGM_RSRC2:TIDIG_COMP_CNT: 0
	.section	.text._Z11fill_kernelIDF16_Z21hipblaslt_init_deviceIDF16_Ev8ABC_dims24hipblaslt_initializationbPT_mmmmmEUlmE1_EvS4_mmT0_,"axG",@progbits,_Z11fill_kernelIDF16_Z21hipblaslt_init_deviceIDF16_Ev8ABC_dims24hipblaslt_initializationbPT_mmmmmEUlmE1_EvS4_mmT0_,comdat
	.protected	_Z11fill_kernelIDF16_Z21hipblaslt_init_deviceIDF16_Ev8ABC_dims24hipblaslt_initializationbPT_mmmmmEUlmE1_EvS4_mmT0_ ; -- Begin function _Z11fill_kernelIDF16_Z21hipblaslt_init_deviceIDF16_Ev8ABC_dims24hipblaslt_initializationbPT_mmmmmEUlmE1_EvS4_mmT0_
	.globl	_Z11fill_kernelIDF16_Z21hipblaslt_init_deviceIDF16_Ev8ABC_dims24hipblaslt_initializationbPT_mmmmmEUlmE1_EvS4_mmT0_
	.p2align	8
	.type	_Z11fill_kernelIDF16_Z21hipblaslt_init_deviceIDF16_Ev8ABC_dims24hipblaslt_initializationbPT_mmmmmEUlmE1_EvS4_mmT0_,@function
_Z11fill_kernelIDF16_Z21hipblaslt_init_deviceIDF16_Ev8ABC_dims24hipblaslt_initializationbPT_mmmmmEUlmE1_EvS4_mmT0_: ; @_Z11fill_kernelIDF16_Z21hipblaslt_init_deviceIDF16_Ev8ABC_dims24hipblaslt_initializationbPT_mmmmmEUlmE1_EvS4_mmT0_
; %bb.0:
	s_clause 0x1
	s_load_b32 s2, s[0:1], 0x34
	s_load_b128 s[4:7], s[0:1], 0x0
	s_waitcnt lgkmcnt(0)
	s_and_b32 s2, s2, 0xffff
	s_delay_alu instid0(SALU_CYCLE_1) | instskip(SKIP_2) | instid1(VALU_DEP_1)
	v_mad_u64_u32 v[1:2], null, s15, s2, v[0:1]
	v_mov_b32_e32 v2, 0
	s_mov_b32 s2, exec_lo
	v_cmpx_gt_u64_e64 s[6:7], v[1:2]
	s_cbranch_execz .LBB24_10
; %bb.1:
	s_clause 0x1
	s_load_b64 s[2:3], s[0:1], 0x10
	s_load_b128 s[8:11], s[0:1], 0x18
	s_waitcnt lgkmcnt(0)
	v_add_co_u32 v0, s0, v1, s2
	s_delay_alu instid0(VALU_DEP_1) | instskip(NEXT) | instid1(VALU_DEP_1)
	v_add_co_ci_u32_e64 v1, null, 0, s3, s0
	v_or_b32_e32 v3, s9, v1
	s_delay_alu instid0(VALU_DEP_1) | instskip(SKIP_1) | instid1(SALU_CYCLE_1)
	v_cmp_ne_u64_e32 vcc_lo, 0, v[2:3]
                                        ; implicit-def: $vgpr2_vgpr3
	s_and_saveexec_b32 s0, vcc_lo
	s_xor_b32 s1, exec_lo, s0
	s_cbranch_execz .LBB24_3
; %bb.2:
	v_cvt_f32_u32_e32 v2, s8
	v_cvt_f32_u32_e32 v3, s9
	s_sub_u32 s0, 0, s8
	s_subb_u32 s2, 0, s9
	s_delay_alu instid0(VALU_DEP_1) | instskip(NEXT) | instid1(VALU_DEP_1)
	v_fmamk_f32 v2, v3, 0x4f800000, v2
	v_rcp_f32_e32 v2, v2
	s_waitcnt_depctr 0xfff
	v_mul_f32_e32 v2, 0x5f7ffffc, v2
	s_delay_alu instid0(VALU_DEP_1) | instskip(NEXT) | instid1(VALU_DEP_1)
	v_mul_f32_e32 v3, 0x2f800000, v2
	v_trunc_f32_e32 v3, v3
	s_delay_alu instid0(VALU_DEP_1) | instskip(SKIP_1) | instid1(VALU_DEP_2)
	v_fmamk_f32 v2, v3, 0xcf800000, v2
	v_cvt_u32_f32_e32 v3, v3
	v_cvt_u32_f32_e32 v2, v2
	s_delay_alu instid0(VALU_DEP_2) | instskip(NEXT) | instid1(VALU_DEP_2)
	v_mul_lo_u32 v4, s0, v3
	v_mul_hi_u32 v5, s0, v2
	v_mul_lo_u32 v6, s2, v2
	s_delay_alu instid0(VALU_DEP_2) | instskip(SKIP_1) | instid1(VALU_DEP_2)
	v_add_nc_u32_e32 v4, v5, v4
	v_mul_lo_u32 v5, s0, v2
	v_add_nc_u32_e32 v4, v4, v6
	s_delay_alu instid0(VALU_DEP_2) | instskip(NEXT) | instid1(VALU_DEP_2)
	v_mul_hi_u32 v6, v2, v5
	v_mul_lo_u32 v7, v2, v4
	v_mul_hi_u32 v8, v2, v4
	v_mul_hi_u32 v9, v3, v5
	v_mul_lo_u32 v5, v3, v5
	v_mul_hi_u32 v10, v3, v4
	v_mul_lo_u32 v4, v3, v4
	v_add_co_u32 v6, vcc_lo, v6, v7
	v_add_co_ci_u32_e32 v7, vcc_lo, 0, v8, vcc_lo
	s_delay_alu instid0(VALU_DEP_2) | instskip(NEXT) | instid1(VALU_DEP_2)
	v_add_co_u32 v5, vcc_lo, v6, v5
	v_add_co_ci_u32_e32 v5, vcc_lo, v7, v9, vcc_lo
	v_add_co_ci_u32_e32 v6, vcc_lo, 0, v10, vcc_lo
	s_delay_alu instid0(VALU_DEP_2) | instskip(NEXT) | instid1(VALU_DEP_2)
	v_add_co_u32 v4, vcc_lo, v5, v4
	v_add_co_ci_u32_e32 v5, vcc_lo, 0, v6, vcc_lo
	s_delay_alu instid0(VALU_DEP_2) | instskip(NEXT) | instid1(VALU_DEP_2)
	v_add_co_u32 v2, vcc_lo, v2, v4
	v_add_co_ci_u32_e32 v3, vcc_lo, v3, v5, vcc_lo
	s_delay_alu instid0(VALU_DEP_2) | instskip(SKIP_1) | instid1(VALU_DEP_3)
	v_mul_hi_u32 v4, s0, v2
	v_mul_lo_u32 v6, s2, v2
	v_mul_lo_u32 v5, s0, v3
	s_delay_alu instid0(VALU_DEP_1) | instskip(SKIP_1) | instid1(VALU_DEP_2)
	v_add_nc_u32_e32 v4, v4, v5
	v_mul_lo_u32 v5, s0, v2
	v_add_nc_u32_e32 v4, v4, v6
	s_delay_alu instid0(VALU_DEP_2) | instskip(NEXT) | instid1(VALU_DEP_2)
	v_mul_hi_u32 v6, v2, v5
	v_mul_lo_u32 v7, v2, v4
	v_mul_hi_u32 v8, v2, v4
	v_mul_hi_u32 v9, v3, v5
	v_mul_lo_u32 v5, v3, v5
	v_mul_hi_u32 v10, v3, v4
	v_mul_lo_u32 v4, v3, v4
	v_add_co_u32 v6, vcc_lo, v6, v7
	v_add_co_ci_u32_e32 v7, vcc_lo, 0, v8, vcc_lo
	s_delay_alu instid0(VALU_DEP_2) | instskip(NEXT) | instid1(VALU_DEP_2)
	v_add_co_u32 v5, vcc_lo, v6, v5
	v_add_co_ci_u32_e32 v5, vcc_lo, v7, v9, vcc_lo
	v_add_co_ci_u32_e32 v6, vcc_lo, 0, v10, vcc_lo
	s_delay_alu instid0(VALU_DEP_2) | instskip(NEXT) | instid1(VALU_DEP_2)
	v_add_co_u32 v4, vcc_lo, v5, v4
	v_add_co_ci_u32_e32 v5, vcc_lo, 0, v6, vcc_lo
	s_delay_alu instid0(VALU_DEP_2) | instskip(NEXT) | instid1(VALU_DEP_2)
	v_add_co_u32 v6, vcc_lo, v2, v4
	v_add_co_ci_u32_e32 v8, vcc_lo, v3, v5, vcc_lo
	s_delay_alu instid0(VALU_DEP_2) | instskip(SKIP_1) | instid1(VALU_DEP_3)
	v_mul_hi_u32 v9, v0, v6
	v_mad_u64_u32 v[4:5], null, v1, v6, 0
	v_mad_u64_u32 v[2:3], null, v0, v8, 0
	v_mad_u64_u32 v[6:7], null, v1, v8, 0
	s_delay_alu instid0(VALU_DEP_2) | instskip(NEXT) | instid1(VALU_DEP_3)
	v_add_co_u32 v2, vcc_lo, v9, v2
	v_add_co_ci_u32_e32 v3, vcc_lo, 0, v3, vcc_lo
	s_delay_alu instid0(VALU_DEP_2) | instskip(NEXT) | instid1(VALU_DEP_2)
	v_add_co_u32 v2, vcc_lo, v2, v4
	v_add_co_ci_u32_e32 v2, vcc_lo, v3, v5, vcc_lo
	v_add_co_ci_u32_e32 v3, vcc_lo, 0, v7, vcc_lo
	s_delay_alu instid0(VALU_DEP_2) | instskip(NEXT) | instid1(VALU_DEP_2)
	v_add_co_u32 v4, vcc_lo, v2, v6
	v_add_co_ci_u32_e32 v5, vcc_lo, 0, v3, vcc_lo
	s_delay_alu instid0(VALU_DEP_2) | instskip(SKIP_1) | instid1(VALU_DEP_3)
	v_mul_lo_u32 v6, s9, v4
	v_mad_u64_u32 v[2:3], null, s8, v4, 0
	v_mul_lo_u32 v4, s8, v5
	s_delay_alu instid0(VALU_DEP_2) | instskip(NEXT) | instid1(VALU_DEP_2)
	v_sub_co_u32 v2, vcc_lo, v0, v2
	v_add3_u32 v3, v3, v4, v6
	s_delay_alu instid0(VALU_DEP_1) | instskip(NEXT) | instid1(VALU_DEP_1)
	v_sub_nc_u32_e32 v4, v1, v3
	v_subrev_co_ci_u32_e64 v4, s0, s9, v4, vcc_lo
	v_sub_co_ci_u32_e32 v3, vcc_lo, v1, v3, vcc_lo
	v_sub_co_u32 v5, vcc_lo, v2, s8
	s_delay_alu instid0(VALU_DEP_1) | instskip(SKIP_3) | instid1(VALU_DEP_3)
	v_subrev_co_ci_u32_e64 v6, s0, 0, v4, vcc_lo
	v_cmp_le_u32_e64 s0, s8, v2
	v_subrev_co_ci_u32_e32 v4, vcc_lo, s9, v4, vcc_lo
	v_cmp_le_u32_e32 vcc_lo, s9, v3
	v_cndmask_b32_e64 v7, 0, -1, s0
	v_cmp_le_u32_e64 s0, s8, v5
	v_cndmask_b32_e64 v10, 0, -1, vcc_lo
	v_cmp_eq_u32_e32 vcc_lo, s9, v6
	s_delay_alu instid0(VALU_DEP_3) | instskip(SKIP_1) | instid1(VALU_DEP_1)
	v_cndmask_b32_e64 v8, 0, -1, s0
	v_cmp_le_u32_e64 s0, s9, v6
	v_cndmask_b32_e64 v9, 0, -1, s0
	v_cmp_eq_u32_e64 s0, s9, v3
	s_delay_alu instid0(VALU_DEP_2) | instskip(SKIP_2) | instid1(VALU_DEP_3)
	v_cndmask_b32_e32 v8, v9, v8, vcc_lo
	v_sub_co_u32 v9, vcc_lo, v5, s8
	v_subrev_co_ci_u32_e32 v4, vcc_lo, 0, v4, vcc_lo
	v_cmp_ne_u32_e32 vcc_lo, 0, v8
	v_cndmask_b32_e64 v7, v10, v7, s0
	s_delay_alu instid0(VALU_DEP_3) | instskip(NEXT) | instid1(VALU_DEP_2)
	v_dual_cndmask_b32 v4, v6, v4 :: v_dual_cndmask_b32 v5, v5, v9
	v_cmp_ne_u32_e32 vcc_lo, 0, v7
	s_delay_alu instid0(VALU_DEP_2)
	v_dual_cndmask_b32 v3, v3, v4 :: v_dual_cndmask_b32 v2, v2, v5
.LBB24_3:
	s_and_not1_saveexec_b32 s0, s1
	s_cbranch_execz .LBB24_5
; %bb.4:
	v_cvt_f32_u32_e32 v2, s8
	s_sub_i32 s1, 0, s8
	s_delay_alu instid0(VALU_DEP_1) | instskip(SKIP_2) | instid1(VALU_DEP_1)
	v_rcp_iflag_f32_e32 v2, v2
	s_waitcnt_depctr 0xfff
	v_mul_f32_e32 v2, 0x4f7ffffe, v2
	v_cvt_u32_f32_e32 v2, v2
	s_delay_alu instid0(VALU_DEP_1) | instskip(NEXT) | instid1(VALU_DEP_1)
	v_mul_lo_u32 v3, s1, v2
	v_mul_hi_u32 v3, v2, v3
	s_delay_alu instid0(VALU_DEP_1) | instskip(NEXT) | instid1(VALU_DEP_1)
	v_add_nc_u32_e32 v2, v2, v3
	v_mul_hi_u32 v2, v0, v2
	s_delay_alu instid0(VALU_DEP_1) | instskip(NEXT) | instid1(VALU_DEP_1)
	v_mul_lo_u32 v2, v2, s8
	v_sub_nc_u32_e32 v2, v0, v2
	s_delay_alu instid0(VALU_DEP_1) | instskip(SKIP_1) | instid1(VALU_DEP_2)
	v_subrev_nc_u32_e32 v3, s8, v2
	v_cmp_le_u32_e32 vcc_lo, s8, v2
	v_cndmask_b32_e32 v2, v2, v3, vcc_lo
	s_delay_alu instid0(VALU_DEP_1) | instskip(SKIP_1) | instid1(VALU_DEP_2)
	v_subrev_nc_u32_e32 v3, s8, v2
	v_cmp_le_u32_e32 vcc_lo, s8, v2
	v_dual_cndmask_b32 v2, v2, v3 :: v_dual_mov_b32 v3, 0
.LBB24_5:
	s_or_b32 exec_lo, exec_lo, s0
	s_delay_alu instid0(VALU_DEP_1) | instskip(SKIP_1) | instid1(VALU_DEP_1)
	v_or_b32_e32 v5, s11, v3
	v_mov_b32_e32 v4, 0
	v_cmp_ne_u64_e32 vcc_lo, 0, v[4:5]
                                        ; implicit-def: $vgpr4_vgpr5
	s_and_saveexec_b32 s0, vcc_lo
	s_delay_alu instid0(SALU_CYCLE_1)
	s_xor_b32 s1, exec_lo, s0
	s_cbranch_execz .LBB24_7
; %bb.6:
	v_cvt_f32_u32_e32 v4, s10
	v_cvt_f32_u32_e32 v5, s11
	s_sub_u32 s0, 0, s10
	s_subb_u32 s2, 0, s11
	s_delay_alu instid0(VALU_DEP_1) | instskip(NEXT) | instid1(VALU_DEP_1)
	v_fmamk_f32 v4, v5, 0x4f800000, v4
	v_rcp_f32_e32 v4, v4
	s_waitcnt_depctr 0xfff
	v_mul_f32_e32 v4, 0x5f7ffffc, v4
	s_delay_alu instid0(VALU_DEP_1) | instskip(NEXT) | instid1(VALU_DEP_1)
	v_mul_f32_e32 v5, 0x2f800000, v4
	v_trunc_f32_e32 v5, v5
	s_delay_alu instid0(VALU_DEP_1) | instskip(SKIP_1) | instid1(VALU_DEP_2)
	v_fmamk_f32 v4, v5, 0xcf800000, v4
	v_cvt_u32_f32_e32 v5, v5
	v_cvt_u32_f32_e32 v4, v4
	s_delay_alu instid0(VALU_DEP_2) | instskip(NEXT) | instid1(VALU_DEP_2)
	v_mul_lo_u32 v6, s0, v5
	v_mul_hi_u32 v7, s0, v4
	v_mul_lo_u32 v8, s2, v4
	s_delay_alu instid0(VALU_DEP_2) | instskip(SKIP_1) | instid1(VALU_DEP_2)
	v_add_nc_u32_e32 v6, v7, v6
	v_mul_lo_u32 v7, s0, v4
	v_add_nc_u32_e32 v6, v6, v8
	s_delay_alu instid0(VALU_DEP_2) | instskip(NEXT) | instid1(VALU_DEP_2)
	v_mul_hi_u32 v8, v4, v7
	v_mul_lo_u32 v9, v4, v6
	v_mul_hi_u32 v10, v4, v6
	v_mul_hi_u32 v11, v5, v7
	v_mul_lo_u32 v7, v5, v7
	v_mul_hi_u32 v12, v5, v6
	v_mul_lo_u32 v6, v5, v6
	v_add_co_u32 v8, vcc_lo, v8, v9
	v_add_co_ci_u32_e32 v9, vcc_lo, 0, v10, vcc_lo
	s_delay_alu instid0(VALU_DEP_2) | instskip(NEXT) | instid1(VALU_DEP_2)
	v_add_co_u32 v7, vcc_lo, v8, v7
	v_add_co_ci_u32_e32 v7, vcc_lo, v9, v11, vcc_lo
	v_add_co_ci_u32_e32 v8, vcc_lo, 0, v12, vcc_lo
	s_delay_alu instid0(VALU_DEP_2) | instskip(NEXT) | instid1(VALU_DEP_2)
	v_add_co_u32 v6, vcc_lo, v7, v6
	v_add_co_ci_u32_e32 v7, vcc_lo, 0, v8, vcc_lo
	s_delay_alu instid0(VALU_DEP_2) | instskip(NEXT) | instid1(VALU_DEP_2)
	v_add_co_u32 v4, vcc_lo, v4, v6
	v_add_co_ci_u32_e32 v5, vcc_lo, v5, v7, vcc_lo
	s_delay_alu instid0(VALU_DEP_2) | instskip(SKIP_1) | instid1(VALU_DEP_3)
	v_mul_hi_u32 v6, s0, v4
	v_mul_lo_u32 v8, s2, v4
	v_mul_lo_u32 v7, s0, v5
	s_delay_alu instid0(VALU_DEP_1) | instskip(SKIP_1) | instid1(VALU_DEP_2)
	v_add_nc_u32_e32 v6, v6, v7
	v_mul_lo_u32 v7, s0, v4
	v_add_nc_u32_e32 v6, v6, v8
	s_delay_alu instid0(VALU_DEP_2) | instskip(NEXT) | instid1(VALU_DEP_2)
	v_mul_hi_u32 v8, v4, v7
	v_mul_lo_u32 v9, v4, v6
	v_mul_hi_u32 v10, v4, v6
	v_mul_hi_u32 v11, v5, v7
	v_mul_lo_u32 v7, v5, v7
	v_mul_hi_u32 v12, v5, v6
	v_mul_lo_u32 v6, v5, v6
	v_add_co_u32 v8, vcc_lo, v8, v9
	v_add_co_ci_u32_e32 v9, vcc_lo, 0, v10, vcc_lo
	s_delay_alu instid0(VALU_DEP_2) | instskip(NEXT) | instid1(VALU_DEP_2)
	v_add_co_u32 v7, vcc_lo, v8, v7
	v_add_co_ci_u32_e32 v7, vcc_lo, v9, v11, vcc_lo
	v_add_co_ci_u32_e32 v8, vcc_lo, 0, v12, vcc_lo
	s_delay_alu instid0(VALU_DEP_2) | instskip(NEXT) | instid1(VALU_DEP_2)
	v_add_co_u32 v6, vcc_lo, v7, v6
	v_add_co_ci_u32_e32 v7, vcc_lo, 0, v8, vcc_lo
	s_delay_alu instid0(VALU_DEP_2) | instskip(NEXT) | instid1(VALU_DEP_2)
	v_add_co_u32 v8, vcc_lo, v4, v6
	v_add_co_ci_u32_e32 v10, vcc_lo, v5, v7, vcc_lo
	s_delay_alu instid0(VALU_DEP_2) | instskip(SKIP_1) | instid1(VALU_DEP_3)
	v_mul_hi_u32 v11, v2, v8
	v_mad_u64_u32 v[6:7], null, v3, v8, 0
	v_mad_u64_u32 v[4:5], null, v2, v10, 0
	v_mad_u64_u32 v[8:9], null, v3, v10, 0
	s_delay_alu instid0(VALU_DEP_2) | instskip(NEXT) | instid1(VALU_DEP_3)
	v_add_co_u32 v4, vcc_lo, v11, v4
	v_add_co_ci_u32_e32 v5, vcc_lo, 0, v5, vcc_lo
	s_delay_alu instid0(VALU_DEP_2) | instskip(NEXT) | instid1(VALU_DEP_2)
	v_add_co_u32 v4, vcc_lo, v4, v6
	v_add_co_ci_u32_e32 v4, vcc_lo, v5, v7, vcc_lo
	v_add_co_ci_u32_e32 v5, vcc_lo, 0, v9, vcc_lo
	s_delay_alu instid0(VALU_DEP_2) | instskip(NEXT) | instid1(VALU_DEP_2)
	v_add_co_u32 v6, vcc_lo, v4, v8
	v_add_co_ci_u32_e32 v7, vcc_lo, 0, v5, vcc_lo
	s_delay_alu instid0(VALU_DEP_2) | instskip(SKIP_1) | instid1(VALU_DEP_3)
	v_mul_lo_u32 v8, s11, v6
	v_mad_u64_u32 v[4:5], null, s10, v6, 0
	v_mul_lo_u32 v7, s10, v7
	s_delay_alu instid0(VALU_DEP_2) | instskip(NEXT) | instid1(VALU_DEP_2)
	v_sub_co_u32 v4, vcc_lo, v2, v4
	v_add3_u32 v5, v5, v7, v8
	v_add_co_u32 v8, s0, v6, 2
	s_delay_alu instid0(VALU_DEP_2) | instskip(NEXT) | instid1(VALU_DEP_1)
	v_sub_nc_u32_e32 v7, v3, v5
	v_subrev_co_ci_u32_e64 v7, s0, s11, v7, vcc_lo
	v_sub_co_u32 v9, s0, v4, s10
	v_sub_co_ci_u32_e32 v3, vcc_lo, v3, v5, vcc_lo
	s_delay_alu instid0(VALU_DEP_3) | instskip(NEXT) | instid1(VALU_DEP_3)
	v_subrev_co_ci_u32_e64 v7, s0, 0, v7, s0
	v_cmp_le_u32_e32 vcc_lo, s10, v9
	v_cndmask_b32_e64 v5, 0, -1, vcc_lo
	s_delay_alu instid0(VALU_DEP_3)
	v_cmp_le_u32_e32 vcc_lo, s11, v7
	v_cndmask_b32_e64 v9, 0, -1, vcc_lo
	v_cmp_le_u32_e32 vcc_lo, s10, v4
	v_cndmask_b32_e64 v4, 0, -1, vcc_lo
	;; [unrolled: 2-line block ×3, first 2 shown]
	v_cmp_eq_u32_e32 vcc_lo, s11, v7
	v_cndmask_b32_e32 v5, v9, v5, vcc_lo
	v_add_co_u32 v7, vcc_lo, v6, 1
	v_cmp_eq_u32_e32 vcc_lo, s11, v3
	v_cndmask_b32_e32 v3, v10, v4, vcc_lo
	s_delay_alu instid0(VALU_DEP_4) | instskip(NEXT) | instid1(VALU_DEP_4)
	v_cmp_ne_u32_e32 vcc_lo, 0, v5
	v_cndmask_b32_e32 v4, v7, v8, vcc_lo
	s_delay_alu instid0(VALU_DEP_3) | instskip(NEXT) | instid1(VALU_DEP_2)
	v_cmp_ne_u32_e32 vcc_lo, 0, v3
	v_cndmask_b32_e32 v4, v6, v4, vcc_lo
.LBB24_7:
	s_and_not1_saveexec_b32 s0, s1
	s_cbranch_execz .LBB24_9
; %bb.8:
	v_cvt_f32_u32_e32 v3, s10
	s_sub_i32 s1, 0, s10
	s_delay_alu instid0(VALU_DEP_1) | instskip(SKIP_2) | instid1(VALU_DEP_1)
	v_rcp_iflag_f32_e32 v3, v3
	s_waitcnt_depctr 0xfff
	v_mul_f32_e32 v3, 0x4f7ffffe, v3
	v_cvt_u32_f32_e32 v3, v3
	s_delay_alu instid0(VALU_DEP_1) | instskip(NEXT) | instid1(VALU_DEP_1)
	v_mul_lo_u32 v4, s1, v3
	v_mul_hi_u32 v4, v3, v4
	s_delay_alu instid0(VALU_DEP_1) | instskip(NEXT) | instid1(VALU_DEP_1)
	v_add_nc_u32_e32 v3, v3, v4
	v_mul_hi_u32 v3, v2, v3
	s_delay_alu instid0(VALU_DEP_1) | instskip(SKIP_1) | instid1(VALU_DEP_2)
	v_mul_lo_u32 v4, v3, s10
	v_add_nc_u32_e32 v5, 1, v3
	v_sub_nc_u32_e32 v4, v2, v4
	s_delay_alu instid0(VALU_DEP_1) | instskip(SKIP_1) | instid1(VALU_DEP_2)
	v_subrev_nc_u32_e32 v6, s10, v4
	v_cmp_le_u32_e32 vcc_lo, s10, v4
	v_dual_cndmask_b32 v4, v4, v6 :: v_dual_cndmask_b32 v3, v3, v5
	s_delay_alu instid0(VALU_DEP_1) | instskip(NEXT) | instid1(VALU_DEP_2)
	v_cmp_le_u32_e32 vcc_lo, s10, v4
	v_add_nc_u32_e32 v5, 1, v3
	s_delay_alu instid0(VALU_DEP_1)
	v_cndmask_b32_e32 v4, v3, v5, vcc_lo
.LBB24_9:
	s_or_b32 exec_lo, exec_lo, s0
	s_mov_b32 s0, 0x19660d
	s_delay_alu instid0(SALU_CYCLE_1) | instskip(NEXT) | instid1(VALU_DEP_1)
	v_mad_u64_u32 v[5:6], null, v0, s0, 0x3c6ef35f
	v_mov_b32_e32 v3, v6
	s_delay_alu instid0(VALU_DEP_1) | instskip(SKIP_1) | instid1(VALU_DEP_2)
	v_mad_u64_u32 v[6:7], null, 0x19660d, v1, v[3:4]
	v_lshlrev_b64 v[0:1], 1, v[0:1]
	v_lshlrev_b64 v[7:8], 13, v[5:6]
	s_delay_alu instid0(VALU_DEP_1) | instskip(NEXT) | instid1(VALU_DEP_2)
	v_xor_b32_e32 v6, v8, v6
	v_xor_b32_e32 v5, v7, v5
	s_delay_alu instid0(VALU_DEP_1) | instskip(NEXT) | instid1(VALU_DEP_1)
	v_lshrrev_b64 v[7:8], 17, v[5:6]
	v_xor_b32_e32 v6, v8, v6
	s_delay_alu instid0(VALU_DEP_2) | instskip(NEXT) | instid1(VALU_DEP_1)
	v_xor_b32_e32 v5, v7, v5
	v_lshlrev_b64 v[7:8], 5, v[5:6]
	s_delay_alu instid0(VALU_DEP_1) | instskip(NEXT) | instid1(VALU_DEP_2)
	v_xor_b32_e32 v6, v8, v6
	v_xor_b32_e32 v5, v7, v5
	s_delay_alu instid0(VALU_DEP_1) | instskip(NEXT) | instid1(VALU_DEP_1)
	v_lshlrev_b64 v[7:8], 13, v[5:6]
	v_xor_b32_e32 v6, v8, v6
	s_delay_alu instid0(VALU_DEP_2) | instskip(NEXT) | instid1(VALU_DEP_1)
	v_xor_b32_e32 v5, v7, v5
	v_lshrrev_b64 v[7:8], 17, v[5:6]
	s_delay_alu instid0(VALU_DEP_1) | instskip(NEXT) | instid1(VALU_DEP_2)
	v_xor_b32_e32 v6, v8, v6
	v_xor_b32_e32 v5, v7, v5
	s_delay_alu instid0(VALU_DEP_1) | instskip(NEXT) | instid1(VALU_DEP_1)
	v_lshlrev_b64 v[7:8], 5, v[5:6]
	v_xor_b32_e32 v6, v8, v6
	s_delay_alu instid0(VALU_DEP_2) | instskip(NEXT) | instid1(VALU_DEP_1)
	v_xor_b32_e32 v5, v7, v5
	v_lshlrev_b64 v[7:8], 13, v[5:6]
	s_delay_alu instid0(VALU_DEP_1) | instskip(NEXT) | instid1(VALU_DEP_2)
	v_xor_b32_e32 v3, v8, v6
	v_xor_b32_e32 v5, v7, v5
	s_delay_alu instid0(VALU_DEP_1) | instskip(NEXT) | instid1(VALU_DEP_1)
	v_alignbit_b32 v3, v3, v5, 17
	v_xor_b32_e32 v3, v3, v5
	s_delay_alu instid0(VALU_DEP_1) | instskip(NEXT) | instid1(VALU_DEP_1)
	v_lshlrev_b32_e32 v5, 5, v3
	v_xor_b32_e32 v3, v5, v3
	s_delay_alu instid0(VALU_DEP_1) | instskip(NEXT) | instid1(VALU_DEP_1)
	v_mul_hi_u32 v5, 0xcccccccd, v3
	v_lshrrev_b32_e32 v5, 2, v5
	s_delay_alu instid0(VALU_DEP_1) | instskip(NEXT) | instid1(VALU_DEP_1)
	v_lshl_add_u32 v5, v5, 2, v5
	v_sub_nc_u32_e32 v3, v3, v5
	v_mul_lo_u32 v5, v4, s10
	s_delay_alu instid0(VALU_DEP_2) | instskip(NEXT) | instid1(VALU_DEP_2)
	v_add_nc_u32_e32 v3, -2, v3
	v_sub_nc_u32_e32 v2, v2, v5
	s_delay_alu instid0(VALU_DEP_2) | instskip(NEXT) | instid1(VALU_DEP_2)
	v_cvt_f32_i32_e32 v3, v3
	v_xor_b32_e32 v2, v2, v4
	s_delay_alu instid0(VALU_DEP_2) | instskip(NEXT) | instid1(VALU_DEP_2)
	v_cvt_f16_f32_e32 v3, v3
	v_and_b32_e32 v2, 1, v2
	s_delay_alu instid0(VALU_DEP_2) | instskip(NEXT) | instid1(VALU_DEP_2)
	v_xor_b32_e32 v4, 0x8000, v3
	v_cmp_eq_u32_e32 vcc_lo, 0, v2
	s_delay_alu instid0(VALU_DEP_2)
	v_cndmask_b32_e32 v2, v3, v4, vcc_lo
	v_add_co_u32 v0, vcc_lo, s4, v0
	v_add_co_ci_u32_e32 v1, vcc_lo, s5, v1, vcc_lo
	global_store_b16 v[0:1], v2, off
.LBB24_10:
	s_nop 0
	s_sendmsg sendmsg(MSG_DEALLOC_VGPRS)
	s_endpgm
	.section	.rodata,"a",@progbits
	.p2align	6, 0x0
	.amdhsa_kernel _Z11fill_kernelIDF16_Z21hipblaslt_init_deviceIDF16_Ev8ABC_dims24hipblaslt_initializationbPT_mmmmmEUlmE1_EvS4_mmT0_
		.amdhsa_group_segment_fixed_size 0
		.amdhsa_private_segment_fixed_size 0
		.amdhsa_kernarg_size 296
		.amdhsa_user_sgpr_count 15
		.amdhsa_user_sgpr_dispatch_ptr 0
		.amdhsa_user_sgpr_queue_ptr 0
		.amdhsa_user_sgpr_kernarg_segment_ptr 1
		.amdhsa_user_sgpr_dispatch_id 0
		.amdhsa_user_sgpr_private_segment_size 0
		.amdhsa_wavefront_size32 1
		.amdhsa_uses_dynamic_stack 0
		.amdhsa_enable_private_segment 0
		.amdhsa_system_sgpr_workgroup_id_x 1
		.amdhsa_system_sgpr_workgroup_id_y 0
		.amdhsa_system_sgpr_workgroup_id_z 0
		.amdhsa_system_sgpr_workgroup_info 0
		.amdhsa_system_vgpr_workitem_id 0
		.amdhsa_next_free_vgpr 13
		.amdhsa_next_free_sgpr 16
		.amdhsa_reserve_vcc 1
		.amdhsa_float_round_mode_32 0
		.amdhsa_float_round_mode_16_64 0
		.amdhsa_float_denorm_mode_32 3
		.amdhsa_float_denorm_mode_16_64 3
		.amdhsa_dx10_clamp 1
		.amdhsa_ieee_mode 1
		.amdhsa_fp16_overflow 0
		.amdhsa_workgroup_processor_mode 1
		.amdhsa_memory_ordered 1
		.amdhsa_forward_progress 0
		.amdhsa_shared_vgpr_count 0
		.amdhsa_exception_fp_ieee_invalid_op 0
		.amdhsa_exception_fp_denorm_src 0
		.amdhsa_exception_fp_ieee_div_zero 0
		.amdhsa_exception_fp_ieee_overflow 0
		.amdhsa_exception_fp_ieee_underflow 0
		.amdhsa_exception_fp_ieee_inexact 0
		.amdhsa_exception_int_div_zero 0
	.end_amdhsa_kernel
	.section	.text._Z11fill_kernelIDF16_Z21hipblaslt_init_deviceIDF16_Ev8ABC_dims24hipblaslt_initializationbPT_mmmmmEUlmE1_EvS4_mmT0_,"axG",@progbits,_Z11fill_kernelIDF16_Z21hipblaslt_init_deviceIDF16_Ev8ABC_dims24hipblaslt_initializationbPT_mmmmmEUlmE1_EvS4_mmT0_,comdat
.Lfunc_end24:
	.size	_Z11fill_kernelIDF16_Z21hipblaslt_init_deviceIDF16_Ev8ABC_dims24hipblaslt_initializationbPT_mmmmmEUlmE1_EvS4_mmT0_, .Lfunc_end24-_Z11fill_kernelIDF16_Z21hipblaslt_init_deviceIDF16_Ev8ABC_dims24hipblaslt_initializationbPT_mmmmmEUlmE1_EvS4_mmT0_
                                        ; -- End function
	.section	.AMDGPU.csdata,"",@progbits
; Kernel info:
; codeLenInByte = 2252
; NumSgprs: 18
; NumVgprs: 13
; ScratchSize: 0
; MemoryBound: 0
; FloatMode: 240
; IeeeMode: 1
; LDSByteSize: 0 bytes/workgroup (compile time only)
; SGPRBlocks: 2
; VGPRBlocks: 1
; NumSGPRsForWavesPerEU: 18
; NumVGPRsForWavesPerEU: 13
; Occupancy: 16
; WaveLimiterHint : 0
; COMPUTE_PGM_RSRC2:SCRATCH_EN: 0
; COMPUTE_PGM_RSRC2:USER_SGPR: 15
; COMPUTE_PGM_RSRC2:TRAP_HANDLER: 0
; COMPUTE_PGM_RSRC2:TGID_X_EN: 1
; COMPUTE_PGM_RSRC2:TGID_Y_EN: 0
; COMPUTE_PGM_RSRC2:TGID_Z_EN: 0
; COMPUTE_PGM_RSRC2:TIDIG_COMP_CNT: 0
	.section	.text._Z11fill_kernelIDF16_Z21hipblaslt_init_deviceIDF16_Ev8ABC_dims24hipblaslt_initializationbPT_mmmmmEUlmE2_EvS4_mmT0_,"axG",@progbits,_Z11fill_kernelIDF16_Z21hipblaslt_init_deviceIDF16_Ev8ABC_dims24hipblaslt_initializationbPT_mmmmmEUlmE2_EvS4_mmT0_,comdat
	.protected	_Z11fill_kernelIDF16_Z21hipblaslt_init_deviceIDF16_Ev8ABC_dims24hipblaslt_initializationbPT_mmmmmEUlmE2_EvS4_mmT0_ ; -- Begin function _Z11fill_kernelIDF16_Z21hipblaslt_init_deviceIDF16_Ev8ABC_dims24hipblaslt_initializationbPT_mmmmmEUlmE2_EvS4_mmT0_
	.globl	_Z11fill_kernelIDF16_Z21hipblaslt_init_deviceIDF16_Ev8ABC_dims24hipblaslt_initializationbPT_mmmmmEUlmE2_EvS4_mmT0_
	.p2align	8
	.type	_Z11fill_kernelIDF16_Z21hipblaslt_init_deviceIDF16_Ev8ABC_dims24hipblaslt_initializationbPT_mmmmmEUlmE2_EvS4_mmT0_,@function
_Z11fill_kernelIDF16_Z21hipblaslt_init_deviceIDF16_Ev8ABC_dims24hipblaslt_initializationbPT_mmmmmEUlmE2_EvS4_mmT0_: ; @_Z11fill_kernelIDF16_Z21hipblaslt_init_deviceIDF16_Ev8ABC_dims24hipblaslt_initializationbPT_mmmmmEUlmE2_EvS4_mmT0_
; %bb.0:
	s_clause 0x1
	s_load_b32 s2, s[0:1], 0x44
	s_load_b128 s[16:19], s[0:1], 0x0
	s_waitcnt lgkmcnt(0)
	s_and_b32 s2, s2, 0xffff
	s_delay_alu instid0(SALU_CYCLE_1) | instskip(SKIP_2) | instid1(VALU_DEP_1)
	v_mad_u64_u32 v[1:2], null, s15, s2, v[0:1]
	v_mov_b32_e32 v2, 0
	s_mov_b32 s2, exec_lo
	v_cmpx_gt_u64_e64 s[18:19], v[1:2]
	s_cbranch_execz .LBB25_14
; %bb.1:
	s_clause 0x1
	s_load_b64 s[2:3], s[0:1], 0x10
	s_load_b256 s[4:11], s[0:1], 0x18
	s_waitcnt lgkmcnt(0)
	v_add_co_u32 v0, s0, v1, s2
	s_delay_alu instid0(VALU_DEP_1) | instskip(NEXT) | instid1(VALU_DEP_1)
	v_add_co_ci_u32_e64 v1, null, 0, s3, s0
	v_or_b32_e32 v3, s9, v1
	s_delay_alu instid0(VALU_DEP_1) | instskip(SKIP_1) | instid1(SALU_CYCLE_1)
	v_cmp_ne_u64_e32 vcc_lo, 0, v[2:3]
                                        ; implicit-def: $vgpr2_vgpr3
	s_and_saveexec_b32 s0, vcc_lo
	s_xor_b32 s1, exec_lo, s0
	s_cbranch_execz .LBB25_3
; %bb.2:
	v_cvt_f32_u32_e32 v2, s8
	v_cvt_f32_u32_e32 v3, s9
	s_sub_u32 s0, 0, s8
	s_subb_u32 s2, 0, s9
	s_delay_alu instid0(VALU_DEP_1) | instskip(NEXT) | instid1(VALU_DEP_1)
	v_fmamk_f32 v2, v3, 0x4f800000, v2
	v_rcp_f32_e32 v2, v2
	s_waitcnt_depctr 0xfff
	v_mul_f32_e32 v2, 0x5f7ffffc, v2
	s_delay_alu instid0(VALU_DEP_1) | instskip(NEXT) | instid1(VALU_DEP_1)
	v_mul_f32_e32 v3, 0x2f800000, v2
	v_trunc_f32_e32 v3, v3
	s_delay_alu instid0(VALU_DEP_1) | instskip(SKIP_1) | instid1(VALU_DEP_2)
	v_fmamk_f32 v2, v3, 0xcf800000, v2
	v_cvt_u32_f32_e32 v3, v3
	v_cvt_u32_f32_e32 v2, v2
	s_delay_alu instid0(VALU_DEP_2) | instskip(NEXT) | instid1(VALU_DEP_2)
	v_mul_lo_u32 v4, s0, v3
	v_mul_hi_u32 v5, s0, v2
	v_mul_lo_u32 v6, s2, v2
	s_delay_alu instid0(VALU_DEP_2) | instskip(SKIP_1) | instid1(VALU_DEP_2)
	v_add_nc_u32_e32 v4, v5, v4
	v_mul_lo_u32 v5, s0, v2
	v_add_nc_u32_e32 v4, v4, v6
	s_delay_alu instid0(VALU_DEP_2) | instskip(NEXT) | instid1(VALU_DEP_2)
	v_mul_hi_u32 v6, v2, v5
	v_mul_lo_u32 v7, v2, v4
	v_mul_hi_u32 v8, v2, v4
	v_mul_hi_u32 v9, v3, v5
	v_mul_lo_u32 v5, v3, v5
	v_mul_hi_u32 v10, v3, v4
	v_mul_lo_u32 v4, v3, v4
	v_add_co_u32 v6, vcc_lo, v6, v7
	v_add_co_ci_u32_e32 v7, vcc_lo, 0, v8, vcc_lo
	s_delay_alu instid0(VALU_DEP_2) | instskip(NEXT) | instid1(VALU_DEP_2)
	v_add_co_u32 v5, vcc_lo, v6, v5
	v_add_co_ci_u32_e32 v5, vcc_lo, v7, v9, vcc_lo
	v_add_co_ci_u32_e32 v6, vcc_lo, 0, v10, vcc_lo
	s_delay_alu instid0(VALU_DEP_2) | instskip(NEXT) | instid1(VALU_DEP_2)
	v_add_co_u32 v4, vcc_lo, v5, v4
	v_add_co_ci_u32_e32 v5, vcc_lo, 0, v6, vcc_lo
	s_delay_alu instid0(VALU_DEP_2) | instskip(NEXT) | instid1(VALU_DEP_2)
	v_add_co_u32 v2, vcc_lo, v2, v4
	v_add_co_ci_u32_e32 v3, vcc_lo, v3, v5, vcc_lo
	s_delay_alu instid0(VALU_DEP_2) | instskip(SKIP_1) | instid1(VALU_DEP_3)
	v_mul_hi_u32 v4, s0, v2
	v_mul_lo_u32 v6, s2, v2
	v_mul_lo_u32 v5, s0, v3
	s_delay_alu instid0(VALU_DEP_1) | instskip(SKIP_1) | instid1(VALU_DEP_2)
	v_add_nc_u32_e32 v4, v4, v5
	v_mul_lo_u32 v5, s0, v2
	v_add_nc_u32_e32 v4, v4, v6
	s_delay_alu instid0(VALU_DEP_2) | instskip(NEXT) | instid1(VALU_DEP_2)
	v_mul_hi_u32 v6, v2, v5
	v_mul_lo_u32 v7, v2, v4
	v_mul_hi_u32 v8, v2, v4
	v_mul_hi_u32 v9, v3, v5
	v_mul_lo_u32 v5, v3, v5
	v_mul_hi_u32 v10, v3, v4
	v_mul_lo_u32 v4, v3, v4
	v_add_co_u32 v6, vcc_lo, v6, v7
	v_add_co_ci_u32_e32 v7, vcc_lo, 0, v8, vcc_lo
	s_delay_alu instid0(VALU_DEP_2) | instskip(NEXT) | instid1(VALU_DEP_2)
	v_add_co_u32 v5, vcc_lo, v6, v5
	v_add_co_ci_u32_e32 v5, vcc_lo, v7, v9, vcc_lo
	v_add_co_ci_u32_e32 v6, vcc_lo, 0, v10, vcc_lo
	s_delay_alu instid0(VALU_DEP_2) | instskip(NEXT) | instid1(VALU_DEP_2)
	v_add_co_u32 v4, vcc_lo, v5, v4
	v_add_co_ci_u32_e32 v5, vcc_lo, 0, v6, vcc_lo
	s_delay_alu instid0(VALU_DEP_2) | instskip(NEXT) | instid1(VALU_DEP_2)
	v_add_co_u32 v6, vcc_lo, v2, v4
	v_add_co_ci_u32_e32 v8, vcc_lo, v3, v5, vcc_lo
	s_delay_alu instid0(VALU_DEP_2) | instskip(SKIP_1) | instid1(VALU_DEP_3)
	v_mul_hi_u32 v9, v0, v6
	v_mad_u64_u32 v[4:5], null, v1, v6, 0
	v_mad_u64_u32 v[2:3], null, v0, v8, 0
	;; [unrolled: 1-line block ×3, first 2 shown]
	s_delay_alu instid0(VALU_DEP_2) | instskip(NEXT) | instid1(VALU_DEP_3)
	v_add_co_u32 v2, vcc_lo, v9, v2
	v_add_co_ci_u32_e32 v3, vcc_lo, 0, v3, vcc_lo
	s_delay_alu instid0(VALU_DEP_2) | instskip(NEXT) | instid1(VALU_DEP_2)
	v_add_co_u32 v2, vcc_lo, v2, v4
	v_add_co_ci_u32_e32 v2, vcc_lo, v3, v5, vcc_lo
	v_add_co_ci_u32_e32 v3, vcc_lo, 0, v7, vcc_lo
	s_delay_alu instid0(VALU_DEP_2) | instskip(NEXT) | instid1(VALU_DEP_2)
	v_add_co_u32 v4, vcc_lo, v2, v6
	v_add_co_ci_u32_e32 v5, vcc_lo, 0, v3, vcc_lo
	s_delay_alu instid0(VALU_DEP_2) | instskip(SKIP_1) | instid1(VALU_DEP_3)
	v_mul_lo_u32 v6, s9, v4
	v_mad_u64_u32 v[2:3], null, s8, v4, 0
	v_mul_lo_u32 v7, s8, v5
	s_delay_alu instid0(VALU_DEP_2) | instskip(NEXT) | instid1(VALU_DEP_2)
	v_sub_co_u32 v2, vcc_lo, v0, v2
	v_add3_u32 v3, v3, v7, v6
	s_delay_alu instid0(VALU_DEP_1) | instskip(NEXT) | instid1(VALU_DEP_1)
	v_sub_nc_u32_e32 v6, v1, v3
	v_subrev_co_ci_u32_e64 v6, s0, s9, v6, vcc_lo
	v_add_co_u32 v7, s0, v4, 2
	s_delay_alu instid0(VALU_DEP_1) | instskip(SKIP_3) | instid1(VALU_DEP_3)
	v_add_co_ci_u32_e64 v8, s0, 0, v5, s0
	v_sub_co_u32 v9, s0, v2, s8
	v_sub_co_ci_u32_e32 v3, vcc_lo, v1, v3, vcc_lo
	v_subrev_co_ci_u32_e64 v6, s0, 0, v6, s0
	v_cmp_le_u32_e32 vcc_lo, s8, v9
	s_delay_alu instid0(VALU_DEP_3) | instskip(SKIP_1) | instid1(VALU_DEP_4)
	v_cmp_eq_u32_e64 s0, s9, v3
	v_cndmask_b32_e64 v9, 0, -1, vcc_lo
	v_cmp_le_u32_e32 vcc_lo, s9, v6
	v_cndmask_b32_e64 v10, 0, -1, vcc_lo
	v_cmp_le_u32_e32 vcc_lo, s8, v2
	;; [unrolled: 2-line block ×3, first 2 shown]
	v_cndmask_b32_e64 v11, 0, -1, vcc_lo
	v_cmp_eq_u32_e32 vcc_lo, s9, v6
	s_delay_alu instid0(VALU_DEP_2) | instskip(SKIP_3) | instid1(VALU_DEP_3)
	v_cndmask_b32_e64 v2, v11, v2, s0
	v_cndmask_b32_e32 v6, v10, v9, vcc_lo
	v_add_co_u32 v9, vcc_lo, v4, 1
	v_add_co_ci_u32_e32 v10, vcc_lo, 0, v5, vcc_lo
	v_cmp_ne_u32_e32 vcc_lo, 0, v6
	s_delay_alu instid0(VALU_DEP_2) | instskip(SKIP_1) | instid1(VALU_DEP_2)
	v_dual_cndmask_b32 v3, v10, v8 :: v_dual_cndmask_b32 v6, v9, v7
	v_cmp_ne_u32_e32 vcc_lo, 0, v2
	v_dual_cndmask_b32 v3, v5, v3 :: v_dual_cndmask_b32 v2, v4, v6
.LBB25_3:
	s_and_not1_saveexec_b32 s0, s1
	s_cbranch_execz .LBB25_5
; %bb.4:
	v_cvt_f32_u32_e32 v2, s8
	s_sub_i32 s1, 0, s8
	s_delay_alu instid0(VALU_DEP_1) | instskip(SKIP_2) | instid1(VALU_DEP_1)
	v_rcp_iflag_f32_e32 v2, v2
	s_waitcnt_depctr 0xfff
	v_mul_f32_e32 v2, 0x4f7ffffe, v2
	v_cvt_u32_f32_e32 v2, v2
	s_delay_alu instid0(VALU_DEP_1) | instskip(NEXT) | instid1(VALU_DEP_1)
	v_mul_lo_u32 v3, s1, v2
	v_mul_hi_u32 v3, v2, v3
	s_delay_alu instid0(VALU_DEP_1) | instskip(NEXT) | instid1(VALU_DEP_1)
	v_add_nc_u32_e32 v2, v2, v3
	v_mul_hi_u32 v2, v0, v2
	s_delay_alu instid0(VALU_DEP_1) | instskip(SKIP_1) | instid1(VALU_DEP_2)
	v_mul_lo_u32 v3, v2, s8
	v_add_nc_u32_e32 v4, 1, v2
	v_sub_nc_u32_e32 v3, v0, v3
	s_delay_alu instid0(VALU_DEP_1) | instskip(SKIP_1) | instid1(VALU_DEP_2)
	v_subrev_nc_u32_e32 v5, s8, v3
	v_cmp_le_u32_e32 vcc_lo, s8, v3
	v_dual_cndmask_b32 v3, v3, v5 :: v_dual_cndmask_b32 v2, v2, v4
	s_delay_alu instid0(VALU_DEP_1) | instskip(NEXT) | instid1(VALU_DEP_2)
	v_cmp_le_u32_e32 vcc_lo, s8, v3
	v_dual_mov_b32 v3, 0 :: v_dual_add_nc_u32 v4, 1, v2
	s_delay_alu instid0(VALU_DEP_1)
	v_cndmask_b32_e32 v2, v2, v4, vcc_lo
.LBB25_5:
	s_or_b32 exec_lo, exec_lo, s0
	s_delay_alu instid0(VALU_DEP_1) | instskip(NEXT) | instid1(VALU_DEP_2)
	v_mul_lo_u32 v6, v3, s8
	v_mul_lo_u32 v7, v2, s9
	v_mad_u64_u32 v[4:5], null, v2, s8, 0
	s_delay_alu instid0(VALU_DEP_1) | instskip(NEXT) | instid1(VALU_DEP_2)
	v_add3_u32 v5, v5, v7, v6
	v_sub_co_u32 v6, vcc_lo, v0, v4
	v_mov_b32_e32 v4, 0
	s_delay_alu instid0(VALU_DEP_3) | instskip(NEXT) | instid1(VALU_DEP_1)
	v_sub_co_ci_u32_e32 v7, vcc_lo, v1, v5, vcc_lo
	v_or_b32_e32 v5, s11, v7
	s_delay_alu instid0(VALU_DEP_1) | instskip(SKIP_1) | instid1(SALU_CYCLE_1)
	v_cmp_ne_u64_e32 vcc_lo, 0, v[4:5]
                                        ; implicit-def: $vgpr4_vgpr5
	s_and_saveexec_b32 s0, vcc_lo
	s_xor_b32 s1, exec_lo, s0
	s_cbranch_execz .LBB25_7
; %bb.6:
	v_cvt_f32_u32_e32 v4, s10
	v_cvt_f32_u32_e32 v5, s11
	s_sub_u32 s0, 0, s10
	s_subb_u32 s2, 0, s11
	s_delay_alu instid0(VALU_DEP_1) | instskip(NEXT) | instid1(VALU_DEP_1)
	v_fmamk_f32 v4, v5, 0x4f800000, v4
	v_rcp_f32_e32 v4, v4
	s_waitcnt_depctr 0xfff
	v_mul_f32_e32 v4, 0x5f7ffffc, v4
	s_delay_alu instid0(VALU_DEP_1) | instskip(NEXT) | instid1(VALU_DEP_1)
	v_mul_f32_e32 v5, 0x2f800000, v4
	v_trunc_f32_e32 v5, v5
	s_delay_alu instid0(VALU_DEP_1) | instskip(SKIP_1) | instid1(VALU_DEP_2)
	v_fmamk_f32 v4, v5, 0xcf800000, v4
	v_cvt_u32_f32_e32 v5, v5
	v_cvt_u32_f32_e32 v4, v4
	s_delay_alu instid0(VALU_DEP_2) | instskip(NEXT) | instid1(VALU_DEP_2)
	v_mul_lo_u32 v8, s0, v5
	v_mul_hi_u32 v9, s0, v4
	v_mul_lo_u32 v10, s2, v4
	s_delay_alu instid0(VALU_DEP_2) | instskip(SKIP_1) | instid1(VALU_DEP_2)
	v_add_nc_u32_e32 v8, v9, v8
	v_mul_lo_u32 v9, s0, v4
	v_add_nc_u32_e32 v8, v8, v10
	s_delay_alu instid0(VALU_DEP_2) | instskip(NEXT) | instid1(VALU_DEP_2)
	v_mul_hi_u32 v10, v4, v9
	v_mul_lo_u32 v11, v4, v8
	v_mul_hi_u32 v12, v4, v8
	v_mul_hi_u32 v13, v5, v9
	v_mul_lo_u32 v9, v5, v9
	v_mul_hi_u32 v14, v5, v8
	v_mul_lo_u32 v8, v5, v8
	v_add_co_u32 v10, vcc_lo, v10, v11
	v_add_co_ci_u32_e32 v11, vcc_lo, 0, v12, vcc_lo
	s_delay_alu instid0(VALU_DEP_2) | instskip(NEXT) | instid1(VALU_DEP_2)
	v_add_co_u32 v9, vcc_lo, v10, v9
	v_add_co_ci_u32_e32 v9, vcc_lo, v11, v13, vcc_lo
	v_add_co_ci_u32_e32 v10, vcc_lo, 0, v14, vcc_lo
	s_delay_alu instid0(VALU_DEP_2) | instskip(NEXT) | instid1(VALU_DEP_2)
	v_add_co_u32 v8, vcc_lo, v9, v8
	v_add_co_ci_u32_e32 v9, vcc_lo, 0, v10, vcc_lo
	s_delay_alu instid0(VALU_DEP_2) | instskip(NEXT) | instid1(VALU_DEP_2)
	v_add_co_u32 v4, vcc_lo, v4, v8
	v_add_co_ci_u32_e32 v5, vcc_lo, v5, v9, vcc_lo
	s_delay_alu instid0(VALU_DEP_2) | instskip(SKIP_1) | instid1(VALU_DEP_3)
	v_mul_hi_u32 v8, s0, v4
	v_mul_lo_u32 v10, s2, v4
	v_mul_lo_u32 v9, s0, v5
	s_delay_alu instid0(VALU_DEP_1) | instskip(SKIP_1) | instid1(VALU_DEP_2)
	v_add_nc_u32_e32 v8, v8, v9
	v_mul_lo_u32 v9, s0, v4
	v_add_nc_u32_e32 v8, v8, v10
	s_delay_alu instid0(VALU_DEP_2) | instskip(NEXT) | instid1(VALU_DEP_2)
	v_mul_hi_u32 v10, v4, v9
	v_mul_lo_u32 v11, v4, v8
	v_mul_hi_u32 v12, v4, v8
	v_mul_hi_u32 v13, v5, v9
	v_mul_lo_u32 v9, v5, v9
	v_mul_hi_u32 v14, v5, v8
	v_mul_lo_u32 v8, v5, v8
	v_add_co_u32 v10, vcc_lo, v10, v11
	v_add_co_ci_u32_e32 v11, vcc_lo, 0, v12, vcc_lo
	s_delay_alu instid0(VALU_DEP_2) | instskip(NEXT) | instid1(VALU_DEP_2)
	v_add_co_u32 v9, vcc_lo, v10, v9
	v_add_co_ci_u32_e32 v9, vcc_lo, v11, v13, vcc_lo
	v_add_co_ci_u32_e32 v10, vcc_lo, 0, v14, vcc_lo
	s_delay_alu instid0(VALU_DEP_2) | instskip(NEXT) | instid1(VALU_DEP_2)
	v_add_co_u32 v8, vcc_lo, v9, v8
	v_add_co_ci_u32_e32 v9, vcc_lo, 0, v10, vcc_lo
	s_delay_alu instid0(VALU_DEP_2) | instskip(NEXT) | instid1(VALU_DEP_2)
	v_add_co_u32 v10, vcc_lo, v4, v8
	v_add_co_ci_u32_e32 v12, vcc_lo, v5, v9, vcc_lo
	s_delay_alu instid0(VALU_DEP_2) | instskip(SKIP_1) | instid1(VALU_DEP_3)
	v_mul_hi_u32 v13, v6, v10
	v_mad_u64_u32 v[8:9], null, v7, v10, 0
	v_mad_u64_u32 v[4:5], null, v6, v12, 0
	;; [unrolled: 1-line block ×3, first 2 shown]
	s_delay_alu instid0(VALU_DEP_2) | instskip(NEXT) | instid1(VALU_DEP_3)
	v_add_co_u32 v4, vcc_lo, v13, v4
	v_add_co_ci_u32_e32 v5, vcc_lo, 0, v5, vcc_lo
	s_delay_alu instid0(VALU_DEP_2) | instskip(NEXT) | instid1(VALU_DEP_2)
	v_add_co_u32 v4, vcc_lo, v4, v8
	v_add_co_ci_u32_e32 v4, vcc_lo, v5, v9, vcc_lo
	v_add_co_ci_u32_e32 v5, vcc_lo, 0, v11, vcc_lo
	s_delay_alu instid0(VALU_DEP_2) | instskip(NEXT) | instid1(VALU_DEP_2)
	v_add_co_u32 v8, vcc_lo, v4, v10
	v_add_co_ci_u32_e32 v9, vcc_lo, 0, v5, vcc_lo
	s_delay_alu instid0(VALU_DEP_2) | instskip(SKIP_1) | instid1(VALU_DEP_3)
	v_mul_lo_u32 v10, s11, v8
	v_mad_u64_u32 v[4:5], null, s10, v8, 0
	v_mul_lo_u32 v11, s10, v9
	s_delay_alu instid0(VALU_DEP_2) | instskip(NEXT) | instid1(VALU_DEP_2)
	v_sub_co_u32 v4, vcc_lo, v6, v4
	v_add3_u32 v5, v5, v11, v10
	s_delay_alu instid0(VALU_DEP_1) | instskip(NEXT) | instid1(VALU_DEP_1)
	v_sub_nc_u32_e32 v10, v7, v5
	v_subrev_co_ci_u32_e64 v10, s0, s11, v10, vcc_lo
	v_add_co_u32 v11, s0, v8, 2
	s_delay_alu instid0(VALU_DEP_1) | instskip(SKIP_3) | instid1(VALU_DEP_3)
	v_add_co_ci_u32_e64 v12, s0, 0, v9, s0
	v_sub_co_u32 v13, s0, v4, s10
	v_sub_co_ci_u32_e32 v5, vcc_lo, v7, v5, vcc_lo
	v_subrev_co_ci_u32_e64 v10, s0, 0, v10, s0
	v_cmp_le_u32_e32 vcc_lo, s10, v13
	s_delay_alu instid0(VALU_DEP_3) | instskip(SKIP_1) | instid1(VALU_DEP_4)
	v_cmp_eq_u32_e64 s0, s11, v5
	v_cndmask_b32_e64 v13, 0, -1, vcc_lo
	v_cmp_le_u32_e32 vcc_lo, s11, v10
	v_cndmask_b32_e64 v14, 0, -1, vcc_lo
	v_cmp_le_u32_e32 vcc_lo, s10, v4
	;; [unrolled: 2-line block ×3, first 2 shown]
	v_cndmask_b32_e64 v15, 0, -1, vcc_lo
	v_cmp_eq_u32_e32 vcc_lo, s11, v10
	s_delay_alu instid0(VALU_DEP_2) | instskip(SKIP_3) | instid1(VALU_DEP_3)
	v_cndmask_b32_e64 v4, v15, v4, s0
	v_cndmask_b32_e32 v10, v14, v13, vcc_lo
	v_add_co_u32 v13, vcc_lo, v8, 1
	v_add_co_ci_u32_e32 v14, vcc_lo, 0, v9, vcc_lo
	v_cmp_ne_u32_e32 vcc_lo, 0, v10
	s_delay_alu instid0(VALU_DEP_2) | instskip(SKIP_1) | instid1(VALU_DEP_2)
	v_dual_cndmask_b32 v5, v14, v12 :: v_dual_cndmask_b32 v10, v13, v11
	v_cmp_ne_u32_e32 vcc_lo, 0, v4
	v_dual_cndmask_b32 v5, v9, v5 :: v_dual_cndmask_b32 v4, v8, v10
.LBB25_7:
	s_and_not1_saveexec_b32 s0, s1
	s_cbranch_execz .LBB25_9
; %bb.8:
	v_cvt_f32_u32_e32 v4, s10
	s_sub_i32 s1, 0, s10
	s_delay_alu instid0(VALU_DEP_1) | instskip(SKIP_2) | instid1(VALU_DEP_1)
	v_rcp_iflag_f32_e32 v4, v4
	s_waitcnt_depctr 0xfff
	v_mul_f32_e32 v4, 0x4f7ffffe, v4
	v_cvt_u32_f32_e32 v4, v4
	s_delay_alu instid0(VALU_DEP_1) | instskip(NEXT) | instid1(VALU_DEP_1)
	v_mul_lo_u32 v5, s1, v4
	v_mul_hi_u32 v5, v4, v5
	s_delay_alu instid0(VALU_DEP_1) | instskip(NEXT) | instid1(VALU_DEP_1)
	v_add_nc_u32_e32 v4, v4, v5
	v_mul_hi_u32 v4, v6, v4
	s_delay_alu instid0(VALU_DEP_1) | instskip(SKIP_1) | instid1(VALU_DEP_2)
	v_mul_lo_u32 v5, v4, s10
	v_add_nc_u32_e32 v8, 1, v4
	v_sub_nc_u32_e32 v5, v6, v5
	s_delay_alu instid0(VALU_DEP_1) | instskip(SKIP_1) | instid1(VALU_DEP_2)
	v_subrev_nc_u32_e32 v9, s10, v5
	v_cmp_le_u32_e32 vcc_lo, s10, v5
	v_dual_cndmask_b32 v5, v5, v9 :: v_dual_cndmask_b32 v4, v4, v8
	s_delay_alu instid0(VALU_DEP_1) | instskip(NEXT) | instid1(VALU_DEP_2)
	v_cmp_le_u32_e32 vcc_lo, s10, v5
	v_dual_mov_b32 v5, 0 :: v_dual_add_nc_u32 v8, 1, v4
	s_delay_alu instid0(VALU_DEP_1)
	v_cndmask_b32_e32 v4, v4, v8, vcc_lo
.LBB25_9:
	s_or_b32 exec_lo, exec_lo, s0
	s_delay_alu instid0(VALU_DEP_1) | instskip(NEXT) | instid1(VALU_DEP_2)
	v_mul_lo_u32 v12, v5, s10
	v_mul_lo_u32 v13, v4, s11
	v_mad_u64_u32 v[8:9], null, v4, s10, 0
	v_mad_u64_u32 v[10:11], null, v2, s6, v[4:5]
	v_mul_lo_u32 v2, v2, s7
	v_mul_lo_u32 v3, v3, s6
	s_delay_alu instid0(VALU_DEP_4) | instskip(NEXT) | instid1(VALU_DEP_2)
	v_add3_u32 v4, v9, v13, v12
	v_add3_u32 v5, v3, v11, v2
	v_sub_co_u32 v2, vcc_lo, v6, v8
	s_delay_alu instid0(VALU_DEP_3) | instskip(SKIP_1) | instid1(VALU_DEP_4)
	v_sub_co_ci_u32_e32 v3, vcc_lo, v7, v4, vcc_lo
	v_mul_lo_u32 v6, v10, s5
	v_mul_lo_u32 v7, v5, s4
                                        ; implicit-def: $vgpr8
	s_delay_alu instid0(VALU_DEP_3) | instskip(NEXT) | instid1(VALU_DEP_1)
	v_mad_u64_u32 v[4:5], null, v10, s4, v[2:3]
	v_add3_u32 v5, v7, v5, v6
	s_delay_alu instid0(VALU_DEP_2) | instskip(NEXT) | instid1(VALU_DEP_2)
	v_cvt_f64_u32_e32 v[6:7], v4
	v_cvt_f64_u32_e32 v[2:3], v5
	v_cmp_lt_u64_e32 vcc_lo, 0x3fffffff, v[4:5]
                                        ; implicit-def: $vgpr4_vgpr5
	s_delay_alu instid0(VALU_DEP_2) | instskip(NEXT) | instid1(VALU_DEP_1)
	v_ldexp_f64 v[2:3], v[2:3], 32
	v_add_f64 v[2:3], v[2:3], v[6:7]
                                        ; implicit-def: $vgpr6_vgpr7
	s_and_saveexec_b32 s0, vcc_lo
	s_delay_alu instid0(SALU_CYCLE_1)
	s_xor_b32 s1, exec_lo, s0
	s_cbranch_execz .LBB25_11
; %bb.10:
	s_delay_alu instid0(VALU_DEP_1)
	v_trig_preop_f64 v[4:5], v[2:3], 0
	v_trig_preop_f64 v[6:7], v[2:3], 1
	;; [unrolled: 1-line block ×3, first 2 shown]
	v_mov_b32_e32 v24, 0
	s_mov_b32 s2, 0x54442d18
	s_mov_b32 s3, 0x3ff921fb
	;; [unrolled: 1-line block ×4, first 2 shown]
	s_delay_alu instid0(VALU_DEP_4) | instskip(NEXT) | instid1(VALU_DEP_4)
	v_mul_f64 v[8:9], v[4:5], v[2:3]
	v_mul_f64 v[10:11], v[6:7], v[2:3]
	s_delay_alu instid0(VALU_DEP_4) | instskip(NEXT) | instid1(VALU_DEP_3)
	v_mul_f64 v[22:23], v[16:17], v[2:3]
	v_fma_f64 v[4:5], v[4:5], v[2:3], -v[8:9]
	s_delay_alu instid0(VALU_DEP_3) | instskip(NEXT) | instid1(VALU_DEP_3)
	v_fma_f64 v[6:7], v[6:7], v[2:3], -v[10:11]
	v_fma_f64 v[16:17], v[16:17], v[2:3], -v[22:23]
	s_delay_alu instid0(VALU_DEP_3) | instskip(NEXT) | instid1(VALU_DEP_1)
	v_add_f64 v[12:13], v[10:11], v[4:5]
	v_add_f64 v[14:15], v[12:13], -v[10:11]
	v_add_f64 v[20:21], v[8:9], v[12:13]
	s_delay_alu instid0(VALU_DEP_2) | instskip(SKIP_1) | instid1(VALU_DEP_3)
	v_add_f64 v[18:19], v[12:13], -v[14:15]
	v_add_f64 v[4:5], v[4:5], -v[14:15]
	v_ldexp_f64 v[14:15], v[20:21], -2
	v_add_f64 v[8:9], v[20:21], -v[8:9]
	s_delay_alu instid0(VALU_DEP_4) | instskip(SKIP_1) | instid1(VALU_DEP_4)
	v_add_f64 v[10:11], v[10:11], -v[18:19]
	v_add_f64 v[18:19], v[22:23], v[6:7]
	v_cmp_neq_f64_e64 vcc_lo, 0x7ff00000, |v[14:15]|
	s_delay_alu instid0(VALU_DEP_4) | instskip(NEXT) | instid1(VALU_DEP_4)
	v_add_f64 v[8:9], v[12:13], -v[8:9]
	v_add_f64 v[4:5], v[4:5], v[10:11]
	v_fract_f64_e32 v[10:11], v[14:15]
	s_delay_alu instid0(VALU_DEP_2) | instskip(NEXT) | instid1(VALU_DEP_2)
	v_add_f64 v[12:13], v[18:19], v[4:5]
	v_dual_cndmask_b32 v11, 0, v11 :: v_dual_cndmask_b32 v10, 0, v10
	s_delay_alu instid0(VALU_DEP_1) | instskip(NEXT) | instid1(VALU_DEP_3)
	v_ldexp_f64 v[10:11], v[10:11], 2
	v_add_f64 v[14:15], v[8:9], v[12:13]
	s_delay_alu instid0(VALU_DEP_1) | instskip(SKIP_1) | instid1(VALU_DEP_2)
	v_add_f64 v[20:21], v[14:15], v[10:11]
	v_add_f64 v[8:9], v[14:15], -v[8:9]
	v_cmp_gt_f64_e32 vcc_lo, 0, v[20:21]
	v_add_f64 v[20:21], v[18:19], -v[22:23]
	s_delay_alu instid0(VALU_DEP_3) | instskip(SKIP_1) | instid1(VALU_DEP_3)
	v_add_f64 v[8:9], v[12:13], -v[8:9]
	v_cndmask_b32_e64 v25, 0, 0x40100000, vcc_lo
	v_add_f64 v[29:30], v[18:19], -v[20:21]
	v_add_f64 v[6:7], v[6:7], -v[20:21]
	s_delay_alu instid0(VALU_DEP_3) | instskip(SKIP_1) | instid1(VALU_DEP_4)
	v_add_f64 v[10:11], v[10:11], v[24:25]
	v_add_f64 v[25:26], v[12:13], -v[18:19]
	v_add_f64 v[20:21], v[22:23], -v[29:30]
	s_delay_alu instid0(VALU_DEP_3) | instskip(NEXT) | instid1(VALU_DEP_3)
	v_add_f64 v[27:28], v[14:15], v[10:11]
	v_add_f64 v[31:32], v[12:13], -v[25:26]
	v_add_f64 v[4:5], v[4:5], -v[25:26]
	s_delay_alu instid0(VALU_DEP_4) | instskip(NEXT) | instid1(VALU_DEP_4)
	v_add_f64 v[6:7], v[6:7], v[20:21]
	v_cvt_i32_f64_e32 v27, v[27:28]
	s_delay_alu instid0(VALU_DEP_4) | instskip(NEXT) | instid1(VALU_DEP_2)
	v_add_f64 v[18:19], v[18:19], -v[31:32]
	v_cvt_f64_i32_e32 v[25:26], v27
	s_delay_alu instid0(VALU_DEP_2) | instskip(NEXT) | instid1(VALU_DEP_2)
	v_add_f64 v[4:5], v[4:5], v[18:19]
	v_add_f64 v[10:11], v[10:11], -v[25:26]
	s_delay_alu instid0(VALU_DEP_2) | instskip(NEXT) | instid1(VALU_DEP_2)
	v_add_f64 v[4:5], v[6:7], v[4:5]
	v_add_f64 v[6:7], v[14:15], v[10:11]
	s_delay_alu instid0(VALU_DEP_2) | instskip(NEXT) | instid1(VALU_DEP_2)
	v_add_f64 v[4:5], v[16:17], v[4:5]
	v_add_f64 v[10:11], v[6:7], -v[10:11]
	v_cmp_le_f64_e32 vcc_lo, 0.5, v[6:7]
	s_delay_alu instid0(VALU_DEP_3) | instskip(NEXT) | instid1(VALU_DEP_3)
	v_add_f64 v[4:5], v[8:9], v[4:5]
	v_add_f64 v[9:10], v[14:15], -v[10:11]
	v_cndmask_b32_e64 v25, 0, 0x3ff00000, vcc_lo
	v_add_co_ci_u32_e64 v8, s0, 0, v27, vcc_lo
	s_delay_alu instid0(VALU_DEP_2) | instskip(NEXT) | instid1(VALU_DEP_4)
	v_add_f64 v[6:7], v[6:7], -v[24:25]
	v_add_f64 v[4:5], v[4:5], v[9:10]
	s_delay_alu instid0(VALU_DEP_1) | instskip(NEXT) | instid1(VALU_DEP_1)
	v_add_f64 v[9:10], v[6:7], v[4:5]
	v_mul_f64 v[11:12], v[9:10], s[2:3]
	v_add_f64 v[6:7], v[9:10], -v[6:7]
	s_delay_alu instid0(VALU_DEP_2) | instskip(NEXT) | instid1(VALU_DEP_2)
	v_fma_f64 v[13:14], v[9:10], s[2:3], -v[11:12]
	v_add_f64 v[4:5], v[4:5], -v[6:7]
	s_delay_alu instid0(VALU_DEP_2) | instskip(NEXT) | instid1(VALU_DEP_1)
	v_fma_f64 v[6:7], v[9:10], s[4:5], v[13:14]
	v_fma_f64 v[6:7], v[4:5], s[2:3], v[6:7]
	s_delay_alu instid0(VALU_DEP_1) | instskip(NEXT) | instid1(VALU_DEP_1)
	v_add_f64 v[4:5], v[11:12], v[6:7]
	v_add_f64 v[9:10], v[4:5], -v[11:12]
	s_delay_alu instid0(VALU_DEP_1)
	v_add_f64 v[6:7], v[6:7], -v[9:10]
.LBB25_11:
	s_and_not1_saveexec_b32 s0, s1
	s_cbranch_execz .LBB25_13
; %bb.12:
	s_mov_b32 s2, 0x6dc9c883
	s_mov_b32 s3, 0x3fe45f30
	;; [unrolled: 1-line block ×3, first 2 shown]
	s_delay_alu instid0(VALU_DEP_1) | instskip(SKIP_3) | instid1(VALU_DEP_1)
	v_mul_f64 v[4:5], v[2:3], s[2:3]
	s_mov_b32 s2, 0x54442d18
	s_mov_b32 s3, 0xbff921fb
	;; [unrolled: 1-line block ×3, first 2 shown]
	v_rndne_f64_e32 v[8:9], v[4:5]
	s_delay_alu instid0(VALU_DEP_1) | instskip(SKIP_3) | instid1(VALU_DEP_2)
	v_fma_f64 v[4:5], v[8:9], s[2:3], v[2:3]
	v_mul_f64 v[6:7], v[8:9], s[4:5]
	s_mov_b32 s2, 0x252049c0
	s_mov_b32 s3, 0xb97b839a
	v_fma_f64 v[12:13], v[8:9], s[4:5], v[4:5]
	s_delay_alu instid0(VALU_DEP_2) | instskip(SKIP_1) | instid1(VALU_DEP_1)
	v_add_f64 v[10:11], v[4:5], v[6:7]
	s_mov_b32 s5, 0x3c91a626
	v_add_f64 v[4:5], v[4:5], -v[10:11]
	s_delay_alu instid0(VALU_DEP_3) | instskip(NEXT) | instid1(VALU_DEP_2)
	v_add_f64 v[10:11], v[10:11], -v[12:13]
	v_add_f64 v[4:5], v[4:5], v[6:7]
	v_fma_f64 v[6:7], v[8:9], s[4:5], v[6:7]
	s_delay_alu instid0(VALU_DEP_2) | instskip(NEXT) | instid1(VALU_DEP_1)
	v_add_f64 v[4:5], v[10:11], v[4:5]
	v_add_f64 v[4:5], v[4:5], -v[6:7]
	s_delay_alu instid0(VALU_DEP_1) | instskip(SKIP_1) | instid1(VALU_DEP_2)
	v_fma_f64 v[6:7], v[8:9], s[2:3], v[4:5]
	v_cvt_i32_f64_e32 v8, v[8:9]
	v_add_f64 v[4:5], v[12:13], v[6:7]
	s_delay_alu instid0(VALU_DEP_1) | instskip(NEXT) | instid1(VALU_DEP_1)
	v_add_f64 v[10:11], v[4:5], -v[12:13]
	v_add_f64 v[6:7], v[6:7], -v[10:11]
.LBB25_13:
	s_or_b32 exec_lo, exec_lo, s0
	v_mul_f64 v[9:10], v[4:5], v[4:5]
	s_mov_b32 s0, 0xb42fdfa7
	s_mov_b32 s2, 0xf9a43bb8
	;; [unrolled: 1-line block ×6, first 2 shown]
	s_delay_alu instid0(VALU_DEP_2) | instskip(SKIP_2) | instid1(VALU_DEP_2)
	v_mul_f64 v[19:20], v[6:7], 0.5
	v_lshlrev_b32_e32 v2, 30, v8
	v_lshlrev_b64 v[0:1], 1, v[0:1]
	v_xor_b32_e32 v2, v2, v3
	v_fma_f64 v[11:12], v[9:10], s[2:3], s[0:1]
	s_mov_b32 s0, 0x9037ab78
	s_mov_b32 s2, 0x46cc5e42
	s_mov_b32 s1, 0x3e21eeb6
	s_mov_b32 s3, 0xbda907db
	v_mul_f64 v[15:16], v[9:10], 0.5
	v_fma_f64 v[13:14], v[9:10], s[2:3], s[0:1]
	s_mov_b32 s0, 0xa17f65f6
	s_mov_b32 s2, 0x19e83e5c
	;; [unrolled: 1-line block ×4, first 2 shown]
	v_mul_f64 v[21:22], v[4:5], -v[9:10]
	s_delay_alu instid0(VALU_DEP_4) | instskip(NEXT) | instid1(VALU_DEP_4)
	v_fma_f64 v[11:12], v[9:10], v[11:12], s[4:5]
	v_add_f64 v[17:18], -v[15:16], 1.0
	s_delay_alu instid0(VALU_DEP_4) | instskip(SKIP_2) | instid1(VALU_DEP_3)
	v_fma_f64 v[13:14], v[9:10], v[13:14], s[0:1]
	s_mov_b32 s0, 0x19f4ec90
	s_mov_b32 s1, 0x3efa01a0
	v_fma_f64 v[11:12], v[9:10], v[11:12], s[2:3]
	s_mov_b32 s2, 0x11110bb3
	s_mov_b32 s3, 0x3f811111
	s_delay_alu instid0(VALU_DEP_3) | instskip(NEXT) | instid1(VALU_DEP_3)
	v_add_f64 v[23:24], -v[17:18], 1.0
	v_fma_f64 v[13:14], v[9:10], v[13:14], s[0:1]
	s_mov_b32 s0, 0x16c16967
	s_mov_b32 s1, 0xbf56c16c
	s_delay_alu instid0(VALU_DEP_3) | instskip(NEXT) | instid1(VALU_DEP_3)
	v_fma_f64 v[11:12], v[9:10], v[11:12], s[2:3]
	v_add_f64 v[15:16], v[23:24], -v[15:16]
	s_delay_alu instid0(VALU_DEP_3) | instskip(SKIP_2) | instid1(VALU_DEP_3)
	v_fma_f64 v[13:14], v[9:10], v[13:14], s[0:1]
	s_mov_b32 s1, 0x3fa55555
	s_mov_b32 s0, 0x55555555
	v_fma_f64 v[11:12], v[21:22], v[11:12], v[19:20]
	v_mul_f64 v[19:20], v[9:10], v[9:10]
	s_delay_alu instid0(VALU_DEP_4) | instskip(NEXT) | instid1(VALU_DEP_4)
	v_fma_f64 v[15:16], v[4:5], -v[6:7], v[15:16]
	v_fma_f64 v[13:14], v[9:10], v[13:14], s[0:1]
	s_mov_b32 s1, 0xbfc55555
	s_delay_alu instid0(VALU_DEP_4) | instskip(NEXT) | instid1(VALU_DEP_2)
	v_fma_f64 v[6:7], v[9:10], v[11:12], -v[6:7]
	v_fma_f64 v[9:10], v[19:20], v[13:14], v[15:16]
	s_delay_alu instid0(VALU_DEP_2) | instskip(NEXT) | instid1(VALU_DEP_2)
	v_fma_f64 v[6:7], v[21:22], s[0:1], v[6:7]
	v_add_f64 v[9:10], v[17:18], v[9:10]
	s_delay_alu instid0(VALU_DEP_2) | instskip(SKIP_1) | instid1(VALU_DEP_1)
	v_add_f64 v[4:5], v[4:5], -v[6:7]
	v_and_b32_e32 v6, 1, v8
	v_cmp_eq_u32_e32 vcc_lo, 0, v6
	s_delay_alu instid0(VALU_DEP_3) | instskip(NEXT) | instid1(VALU_DEP_4)
	v_dual_cndmask_b32 v3, v9, v4 :: v_dual_and_b32 v2, 0x80000000, v2
	v_cndmask_b32_e32 v4, v10, v5, vcc_lo
	s_delay_alu instid0(VALU_DEP_1) | instskip(SKIP_2) | instid1(VALU_DEP_3)
	v_xor_b32_e32 v2, v4, v2
	v_lshrrev_b32_e32 v5, 8, v4
	v_bfe_u32 v4, v4, 20, 11
	v_and_or_b32 v3, 0x1ff, v2, v3
	v_lshrrev_b32_e32 v2, 16, v2
	s_delay_alu instid0(VALU_DEP_3) | instskip(SKIP_1) | instid1(VALU_DEP_4)
	v_sub_nc_u32_e32 v6, 0x3f1, v4
	v_add_nc_u32_e32 v4, 0xfffffc10, v4
	v_cmp_ne_u32_e32 vcc_lo, 0, v3
	v_cndmask_b32_e64 v3, 0, 1, vcc_lo
	s_delay_alu instid0(VALU_DEP_1) | instskip(SKIP_1) | instid1(VALU_DEP_2)
	v_and_or_b32 v3, 0xffe, v5, v3
	v_med3_i32 v5, v6, 0, 13
	v_or_b32_e32 v6, 0x1000, v3
	v_cmp_ne_u32_e64 s1, 0, v3
	s_delay_alu instid0(VALU_DEP_2) | instskip(NEXT) | instid1(VALU_DEP_1)
	v_lshrrev_b32_e32 v7, v5, v6
	v_lshlrev_b32_e32 v5, v5, v7
	s_delay_alu instid0(VALU_DEP_1) | instskip(SKIP_4) | instid1(VALU_DEP_3)
	v_cmp_ne_u32_e32 vcc_lo, v5, v6
	v_lshl_or_b32 v6, v4, 12, v3
	v_cndmask_b32_e64 v3, 0, 1, s1
	v_cndmask_b32_e64 v5, 0, 1, vcc_lo
	v_cmp_gt_i32_e32 vcc_lo, 1, v4
	v_lshl_or_b32 v3, v3, 9, 0x7c00
	s_delay_alu instid0(VALU_DEP_3) | instskip(NEXT) | instid1(VALU_DEP_1)
	v_or_b32_e32 v5, v7, v5
	v_cndmask_b32_e32 v5, v6, v5, vcc_lo
	s_delay_alu instid0(VALU_DEP_1) | instskip(SKIP_1) | instid1(VALU_DEP_2)
	v_and_b32_e32 v6, 7, v5
	v_lshrrev_b32_e32 v5, 2, v5
	v_cmp_lt_i32_e32 vcc_lo, 5, v6
	v_cmp_eq_u32_e64 s0, 3, v6
	s_delay_alu instid0(VALU_DEP_1) | instskip(NEXT) | instid1(VALU_DEP_3)
	s_or_b32 vcc_lo, s0, vcc_lo
	v_add_co_ci_u32_e32 v5, vcc_lo, 0, v5, vcc_lo
	v_cmp_gt_i32_e32 vcc_lo, 31, v4
	s_delay_alu instid0(VALU_DEP_2) | instskip(SKIP_1) | instid1(VALU_DEP_2)
	v_cndmask_b32_e32 v5, 0x7c00, v5, vcc_lo
	v_cmp_eq_u32_e32 vcc_lo, 0x40f, v4
	v_cndmask_b32_e32 v3, v5, v3, vcc_lo
	v_add_co_u32 v0, vcc_lo, s16, v0
	v_add_co_ci_u32_e32 v1, vcc_lo, s17, v1, vcc_lo
	s_delay_alu instid0(VALU_DEP_3)
	v_and_or_b32 v2, 0x8000, v2, v3
	global_store_b16 v[0:1], v2, off
.LBB25_14:
	s_nop 0
	s_sendmsg sendmsg(MSG_DEALLOC_VGPRS)
	s_endpgm
	.section	.rodata,"a",@progbits
	.p2align	6, 0x0
	.amdhsa_kernel _Z11fill_kernelIDF16_Z21hipblaslt_init_deviceIDF16_Ev8ABC_dims24hipblaslt_initializationbPT_mmmmmEUlmE2_EvS4_mmT0_
		.amdhsa_group_segment_fixed_size 0
		.amdhsa_private_segment_fixed_size 0
		.amdhsa_kernarg_size 312
		.amdhsa_user_sgpr_count 15
		.amdhsa_user_sgpr_dispatch_ptr 0
		.amdhsa_user_sgpr_queue_ptr 0
		.amdhsa_user_sgpr_kernarg_segment_ptr 1
		.amdhsa_user_sgpr_dispatch_id 0
		.amdhsa_user_sgpr_private_segment_size 0
		.amdhsa_wavefront_size32 1
		.amdhsa_uses_dynamic_stack 0
		.amdhsa_enable_private_segment 0
		.amdhsa_system_sgpr_workgroup_id_x 1
		.amdhsa_system_sgpr_workgroup_id_y 0
		.amdhsa_system_sgpr_workgroup_id_z 0
		.amdhsa_system_sgpr_workgroup_info 0
		.amdhsa_system_vgpr_workitem_id 0
		.amdhsa_next_free_vgpr 33
		.amdhsa_next_free_sgpr 20
		.amdhsa_reserve_vcc 1
		.amdhsa_float_round_mode_32 0
		.amdhsa_float_round_mode_16_64 0
		.amdhsa_float_denorm_mode_32 3
		.amdhsa_float_denorm_mode_16_64 3
		.amdhsa_dx10_clamp 1
		.amdhsa_ieee_mode 1
		.amdhsa_fp16_overflow 0
		.amdhsa_workgroup_processor_mode 1
		.amdhsa_memory_ordered 1
		.amdhsa_forward_progress 0
		.amdhsa_shared_vgpr_count 0
		.amdhsa_exception_fp_ieee_invalid_op 0
		.amdhsa_exception_fp_denorm_src 0
		.amdhsa_exception_fp_ieee_div_zero 0
		.amdhsa_exception_fp_ieee_overflow 0
		.amdhsa_exception_fp_ieee_underflow 0
		.amdhsa_exception_fp_ieee_inexact 0
		.amdhsa_exception_int_div_zero 0
	.end_amdhsa_kernel
	.section	.text._Z11fill_kernelIDF16_Z21hipblaslt_init_deviceIDF16_Ev8ABC_dims24hipblaslt_initializationbPT_mmmmmEUlmE2_EvS4_mmT0_,"axG",@progbits,_Z11fill_kernelIDF16_Z21hipblaslt_init_deviceIDF16_Ev8ABC_dims24hipblaslt_initializationbPT_mmmmmEUlmE2_EvS4_mmT0_,comdat
.Lfunc_end25:
	.size	_Z11fill_kernelIDF16_Z21hipblaslt_init_deviceIDF16_Ev8ABC_dims24hipblaslt_initializationbPT_mmmmmEUlmE2_EvS4_mmT0_, .Lfunc_end25-_Z11fill_kernelIDF16_Z21hipblaslt_init_deviceIDF16_Ev8ABC_dims24hipblaslt_initializationbPT_mmmmmEUlmE2_EvS4_mmT0_
                                        ; -- End function
	.section	.AMDGPU.csdata,"",@progbits
; Kernel info:
; codeLenInByte = 3816
; NumSgprs: 22
; NumVgprs: 33
; ScratchSize: 0
; MemoryBound: 0
; FloatMode: 240
; IeeeMode: 1
; LDSByteSize: 0 bytes/workgroup (compile time only)
; SGPRBlocks: 2
; VGPRBlocks: 4
; NumSGPRsForWavesPerEU: 22
; NumVGPRsForWavesPerEU: 33
; Occupancy: 16
; WaveLimiterHint : 0
; COMPUTE_PGM_RSRC2:SCRATCH_EN: 0
; COMPUTE_PGM_RSRC2:USER_SGPR: 15
; COMPUTE_PGM_RSRC2:TRAP_HANDLER: 0
; COMPUTE_PGM_RSRC2:TGID_X_EN: 1
; COMPUTE_PGM_RSRC2:TGID_Y_EN: 0
; COMPUTE_PGM_RSRC2:TGID_Z_EN: 0
; COMPUTE_PGM_RSRC2:TIDIG_COMP_CNT: 0
	.section	.text._Z11fill_kernelIDF16_Z21hipblaslt_init_deviceIDF16_Ev8ABC_dims24hipblaslt_initializationbPT_mmmmmEUlmE3_EvS4_mmT0_,"axG",@progbits,_Z11fill_kernelIDF16_Z21hipblaslt_init_deviceIDF16_Ev8ABC_dims24hipblaslt_initializationbPT_mmmmmEUlmE3_EvS4_mmT0_,comdat
	.protected	_Z11fill_kernelIDF16_Z21hipblaslt_init_deviceIDF16_Ev8ABC_dims24hipblaslt_initializationbPT_mmmmmEUlmE3_EvS4_mmT0_ ; -- Begin function _Z11fill_kernelIDF16_Z21hipblaslt_init_deviceIDF16_Ev8ABC_dims24hipblaslt_initializationbPT_mmmmmEUlmE3_EvS4_mmT0_
	.globl	_Z11fill_kernelIDF16_Z21hipblaslt_init_deviceIDF16_Ev8ABC_dims24hipblaslt_initializationbPT_mmmmmEUlmE3_EvS4_mmT0_
	.p2align	8
	.type	_Z11fill_kernelIDF16_Z21hipblaslt_init_deviceIDF16_Ev8ABC_dims24hipblaslt_initializationbPT_mmmmmEUlmE3_EvS4_mmT0_,@function
_Z11fill_kernelIDF16_Z21hipblaslt_init_deviceIDF16_Ev8ABC_dims24hipblaslt_initializationbPT_mmmmmEUlmE3_EvS4_mmT0_: ; @_Z11fill_kernelIDF16_Z21hipblaslt_init_deviceIDF16_Ev8ABC_dims24hipblaslt_initializationbPT_mmmmmEUlmE3_EvS4_mmT0_
; %bb.0:
	s_clause 0x1
	s_load_b32 s2, s[0:1], 0x44
	s_load_b128 s[16:19], s[0:1], 0x0
	s_waitcnt lgkmcnt(0)
	s_and_b32 s2, s2, 0xffff
	s_delay_alu instid0(SALU_CYCLE_1) | instskip(SKIP_2) | instid1(VALU_DEP_1)
	v_mad_u64_u32 v[1:2], null, s15, s2, v[0:1]
	v_mov_b32_e32 v2, 0
	s_mov_b32 s2, exec_lo
	v_cmpx_gt_u64_e64 s[18:19], v[1:2]
	s_cbranch_execz .LBB26_14
; %bb.1:
	s_clause 0x1
	s_load_b64 s[2:3], s[0:1], 0x10
	s_load_b256 s[4:11], s[0:1], 0x18
	s_waitcnt lgkmcnt(0)
	v_add_co_u32 v0, s0, v1, s2
	s_delay_alu instid0(VALU_DEP_1) | instskip(NEXT) | instid1(VALU_DEP_1)
	v_add_co_ci_u32_e64 v1, null, 0, s3, s0
	v_or_b32_e32 v3, s9, v1
	s_delay_alu instid0(VALU_DEP_1) | instskip(SKIP_1) | instid1(SALU_CYCLE_1)
	v_cmp_ne_u64_e32 vcc_lo, 0, v[2:3]
                                        ; implicit-def: $vgpr2_vgpr3
	s_and_saveexec_b32 s0, vcc_lo
	s_xor_b32 s1, exec_lo, s0
	s_cbranch_execz .LBB26_3
; %bb.2:
	v_cvt_f32_u32_e32 v2, s8
	v_cvt_f32_u32_e32 v3, s9
	s_sub_u32 s0, 0, s8
	s_subb_u32 s2, 0, s9
	s_delay_alu instid0(VALU_DEP_1) | instskip(NEXT) | instid1(VALU_DEP_1)
	v_fmamk_f32 v2, v3, 0x4f800000, v2
	v_rcp_f32_e32 v2, v2
	s_waitcnt_depctr 0xfff
	v_mul_f32_e32 v2, 0x5f7ffffc, v2
	s_delay_alu instid0(VALU_DEP_1) | instskip(NEXT) | instid1(VALU_DEP_1)
	v_mul_f32_e32 v3, 0x2f800000, v2
	v_trunc_f32_e32 v3, v3
	s_delay_alu instid0(VALU_DEP_1) | instskip(SKIP_1) | instid1(VALU_DEP_2)
	v_fmamk_f32 v2, v3, 0xcf800000, v2
	v_cvt_u32_f32_e32 v3, v3
	v_cvt_u32_f32_e32 v2, v2
	s_delay_alu instid0(VALU_DEP_2) | instskip(NEXT) | instid1(VALU_DEP_2)
	v_mul_lo_u32 v4, s0, v3
	v_mul_hi_u32 v5, s0, v2
	v_mul_lo_u32 v6, s2, v2
	s_delay_alu instid0(VALU_DEP_2) | instskip(SKIP_1) | instid1(VALU_DEP_2)
	v_add_nc_u32_e32 v4, v5, v4
	v_mul_lo_u32 v5, s0, v2
	v_add_nc_u32_e32 v4, v4, v6
	s_delay_alu instid0(VALU_DEP_2) | instskip(NEXT) | instid1(VALU_DEP_2)
	v_mul_hi_u32 v6, v2, v5
	v_mul_lo_u32 v7, v2, v4
	v_mul_hi_u32 v8, v2, v4
	v_mul_hi_u32 v9, v3, v5
	v_mul_lo_u32 v5, v3, v5
	v_mul_hi_u32 v10, v3, v4
	v_mul_lo_u32 v4, v3, v4
	v_add_co_u32 v6, vcc_lo, v6, v7
	v_add_co_ci_u32_e32 v7, vcc_lo, 0, v8, vcc_lo
	s_delay_alu instid0(VALU_DEP_2) | instskip(NEXT) | instid1(VALU_DEP_2)
	v_add_co_u32 v5, vcc_lo, v6, v5
	v_add_co_ci_u32_e32 v5, vcc_lo, v7, v9, vcc_lo
	v_add_co_ci_u32_e32 v6, vcc_lo, 0, v10, vcc_lo
	s_delay_alu instid0(VALU_DEP_2) | instskip(NEXT) | instid1(VALU_DEP_2)
	v_add_co_u32 v4, vcc_lo, v5, v4
	v_add_co_ci_u32_e32 v5, vcc_lo, 0, v6, vcc_lo
	s_delay_alu instid0(VALU_DEP_2) | instskip(NEXT) | instid1(VALU_DEP_2)
	v_add_co_u32 v2, vcc_lo, v2, v4
	v_add_co_ci_u32_e32 v3, vcc_lo, v3, v5, vcc_lo
	s_delay_alu instid0(VALU_DEP_2) | instskip(SKIP_1) | instid1(VALU_DEP_3)
	v_mul_hi_u32 v4, s0, v2
	v_mul_lo_u32 v6, s2, v2
	v_mul_lo_u32 v5, s0, v3
	s_delay_alu instid0(VALU_DEP_1) | instskip(SKIP_1) | instid1(VALU_DEP_2)
	v_add_nc_u32_e32 v4, v4, v5
	v_mul_lo_u32 v5, s0, v2
	v_add_nc_u32_e32 v4, v4, v6
	s_delay_alu instid0(VALU_DEP_2) | instskip(NEXT) | instid1(VALU_DEP_2)
	v_mul_hi_u32 v6, v2, v5
	v_mul_lo_u32 v7, v2, v4
	v_mul_hi_u32 v8, v2, v4
	v_mul_hi_u32 v9, v3, v5
	v_mul_lo_u32 v5, v3, v5
	v_mul_hi_u32 v10, v3, v4
	v_mul_lo_u32 v4, v3, v4
	v_add_co_u32 v6, vcc_lo, v6, v7
	v_add_co_ci_u32_e32 v7, vcc_lo, 0, v8, vcc_lo
	s_delay_alu instid0(VALU_DEP_2) | instskip(NEXT) | instid1(VALU_DEP_2)
	v_add_co_u32 v5, vcc_lo, v6, v5
	v_add_co_ci_u32_e32 v5, vcc_lo, v7, v9, vcc_lo
	v_add_co_ci_u32_e32 v6, vcc_lo, 0, v10, vcc_lo
	s_delay_alu instid0(VALU_DEP_2) | instskip(NEXT) | instid1(VALU_DEP_2)
	v_add_co_u32 v4, vcc_lo, v5, v4
	v_add_co_ci_u32_e32 v5, vcc_lo, 0, v6, vcc_lo
	s_delay_alu instid0(VALU_DEP_2) | instskip(NEXT) | instid1(VALU_DEP_2)
	v_add_co_u32 v6, vcc_lo, v2, v4
	v_add_co_ci_u32_e32 v8, vcc_lo, v3, v5, vcc_lo
	s_delay_alu instid0(VALU_DEP_2) | instskip(SKIP_1) | instid1(VALU_DEP_3)
	v_mul_hi_u32 v9, v0, v6
	v_mad_u64_u32 v[4:5], null, v1, v6, 0
	v_mad_u64_u32 v[2:3], null, v0, v8, 0
	;; [unrolled: 1-line block ×3, first 2 shown]
	s_delay_alu instid0(VALU_DEP_2) | instskip(NEXT) | instid1(VALU_DEP_3)
	v_add_co_u32 v2, vcc_lo, v9, v2
	v_add_co_ci_u32_e32 v3, vcc_lo, 0, v3, vcc_lo
	s_delay_alu instid0(VALU_DEP_2) | instskip(NEXT) | instid1(VALU_DEP_2)
	v_add_co_u32 v2, vcc_lo, v2, v4
	v_add_co_ci_u32_e32 v2, vcc_lo, v3, v5, vcc_lo
	v_add_co_ci_u32_e32 v3, vcc_lo, 0, v7, vcc_lo
	s_delay_alu instid0(VALU_DEP_2) | instskip(NEXT) | instid1(VALU_DEP_2)
	v_add_co_u32 v4, vcc_lo, v2, v6
	v_add_co_ci_u32_e32 v5, vcc_lo, 0, v3, vcc_lo
	s_delay_alu instid0(VALU_DEP_2) | instskip(SKIP_1) | instid1(VALU_DEP_3)
	v_mul_lo_u32 v6, s9, v4
	v_mad_u64_u32 v[2:3], null, s8, v4, 0
	v_mul_lo_u32 v7, s8, v5
	s_delay_alu instid0(VALU_DEP_2) | instskip(NEXT) | instid1(VALU_DEP_2)
	v_sub_co_u32 v2, vcc_lo, v0, v2
	v_add3_u32 v3, v3, v7, v6
	s_delay_alu instid0(VALU_DEP_1) | instskip(NEXT) | instid1(VALU_DEP_1)
	v_sub_nc_u32_e32 v6, v1, v3
	v_subrev_co_ci_u32_e64 v6, s0, s9, v6, vcc_lo
	v_add_co_u32 v7, s0, v4, 2
	s_delay_alu instid0(VALU_DEP_1) | instskip(SKIP_3) | instid1(VALU_DEP_3)
	v_add_co_ci_u32_e64 v8, s0, 0, v5, s0
	v_sub_co_u32 v9, s0, v2, s8
	v_sub_co_ci_u32_e32 v3, vcc_lo, v1, v3, vcc_lo
	v_subrev_co_ci_u32_e64 v6, s0, 0, v6, s0
	v_cmp_le_u32_e32 vcc_lo, s8, v9
	s_delay_alu instid0(VALU_DEP_3) | instskip(SKIP_1) | instid1(VALU_DEP_4)
	v_cmp_eq_u32_e64 s0, s9, v3
	v_cndmask_b32_e64 v9, 0, -1, vcc_lo
	v_cmp_le_u32_e32 vcc_lo, s9, v6
	v_cndmask_b32_e64 v10, 0, -1, vcc_lo
	v_cmp_le_u32_e32 vcc_lo, s8, v2
	;; [unrolled: 2-line block ×3, first 2 shown]
	v_cndmask_b32_e64 v11, 0, -1, vcc_lo
	v_cmp_eq_u32_e32 vcc_lo, s9, v6
	s_delay_alu instid0(VALU_DEP_2) | instskip(SKIP_3) | instid1(VALU_DEP_3)
	v_cndmask_b32_e64 v2, v11, v2, s0
	v_cndmask_b32_e32 v6, v10, v9, vcc_lo
	v_add_co_u32 v9, vcc_lo, v4, 1
	v_add_co_ci_u32_e32 v10, vcc_lo, 0, v5, vcc_lo
	v_cmp_ne_u32_e32 vcc_lo, 0, v6
	s_delay_alu instid0(VALU_DEP_2) | instskip(SKIP_1) | instid1(VALU_DEP_2)
	v_dual_cndmask_b32 v3, v10, v8 :: v_dual_cndmask_b32 v6, v9, v7
	v_cmp_ne_u32_e32 vcc_lo, 0, v2
	v_dual_cndmask_b32 v3, v5, v3 :: v_dual_cndmask_b32 v2, v4, v6
.LBB26_3:
	s_and_not1_saveexec_b32 s0, s1
	s_cbranch_execz .LBB26_5
; %bb.4:
	v_cvt_f32_u32_e32 v2, s8
	s_sub_i32 s1, 0, s8
	s_delay_alu instid0(VALU_DEP_1) | instskip(SKIP_2) | instid1(VALU_DEP_1)
	v_rcp_iflag_f32_e32 v2, v2
	s_waitcnt_depctr 0xfff
	v_mul_f32_e32 v2, 0x4f7ffffe, v2
	v_cvt_u32_f32_e32 v2, v2
	s_delay_alu instid0(VALU_DEP_1) | instskip(NEXT) | instid1(VALU_DEP_1)
	v_mul_lo_u32 v3, s1, v2
	v_mul_hi_u32 v3, v2, v3
	s_delay_alu instid0(VALU_DEP_1) | instskip(NEXT) | instid1(VALU_DEP_1)
	v_add_nc_u32_e32 v2, v2, v3
	v_mul_hi_u32 v2, v0, v2
	s_delay_alu instid0(VALU_DEP_1) | instskip(SKIP_1) | instid1(VALU_DEP_2)
	v_mul_lo_u32 v3, v2, s8
	v_add_nc_u32_e32 v4, 1, v2
	v_sub_nc_u32_e32 v3, v0, v3
	s_delay_alu instid0(VALU_DEP_1) | instskip(SKIP_1) | instid1(VALU_DEP_2)
	v_subrev_nc_u32_e32 v5, s8, v3
	v_cmp_le_u32_e32 vcc_lo, s8, v3
	v_dual_cndmask_b32 v3, v3, v5 :: v_dual_cndmask_b32 v2, v2, v4
	s_delay_alu instid0(VALU_DEP_1) | instskip(NEXT) | instid1(VALU_DEP_2)
	v_cmp_le_u32_e32 vcc_lo, s8, v3
	v_dual_mov_b32 v3, 0 :: v_dual_add_nc_u32 v4, 1, v2
	s_delay_alu instid0(VALU_DEP_1)
	v_cndmask_b32_e32 v2, v2, v4, vcc_lo
.LBB26_5:
	s_or_b32 exec_lo, exec_lo, s0
	s_delay_alu instid0(VALU_DEP_1) | instskip(NEXT) | instid1(VALU_DEP_2)
	v_mul_lo_u32 v6, v3, s8
	v_mul_lo_u32 v7, v2, s9
	v_mad_u64_u32 v[4:5], null, v2, s8, 0
	s_delay_alu instid0(VALU_DEP_1) | instskip(NEXT) | instid1(VALU_DEP_2)
	v_add3_u32 v5, v5, v7, v6
	v_sub_co_u32 v6, vcc_lo, v0, v4
	v_mov_b32_e32 v4, 0
	s_delay_alu instid0(VALU_DEP_3) | instskip(NEXT) | instid1(VALU_DEP_1)
	v_sub_co_ci_u32_e32 v7, vcc_lo, v1, v5, vcc_lo
	v_or_b32_e32 v5, s11, v7
	s_delay_alu instid0(VALU_DEP_1) | instskip(SKIP_1) | instid1(SALU_CYCLE_1)
	v_cmp_ne_u64_e32 vcc_lo, 0, v[4:5]
                                        ; implicit-def: $vgpr4_vgpr5
	s_and_saveexec_b32 s0, vcc_lo
	s_xor_b32 s1, exec_lo, s0
	s_cbranch_execz .LBB26_7
; %bb.6:
	v_cvt_f32_u32_e32 v4, s10
	v_cvt_f32_u32_e32 v5, s11
	s_sub_u32 s0, 0, s10
	s_subb_u32 s2, 0, s11
	s_delay_alu instid0(VALU_DEP_1) | instskip(NEXT) | instid1(VALU_DEP_1)
	v_fmamk_f32 v4, v5, 0x4f800000, v4
	v_rcp_f32_e32 v4, v4
	s_waitcnt_depctr 0xfff
	v_mul_f32_e32 v4, 0x5f7ffffc, v4
	s_delay_alu instid0(VALU_DEP_1) | instskip(NEXT) | instid1(VALU_DEP_1)
	v_mul_f32_e32 v5, 0x2f800000, v4
	v_trunc_f32_e32 v5, v5
	s_delay_alu instid0(VALU_DEP_1) | instskip(SKIP_1) | instid1(VALU_DEP_2)
	v_fmamk_f32 v4, v5, 0xcf800000, v4
	v_cvt_u32_f32_e32 v5, v5
	v_cvt_u32_f32_e32 v4, v4
	s_delay_alu instid0(VALU_DEP_2) | instskip(NEXT) | instid1(VALU_DEP_2)
	v_mul_lo_u32 v8, s0, v5
	v_mul_hi_u32 v9, s0, v4
	v_mul_lo_u32 v10, s2, v4
	s_delay_alu instid0(VALU_DEP_2) | instskip(SKIP_1) | instid1(VALU_DEP_2)
	v_add_nc_u32_e32 v8, v9, v8
	v_mul_lo_u32 v9, s0, v4
	v_add_nc_u32_e32 v8, v8, v10
	s_delay_alu instid0(VALU_DEP_2) | instskip(NEXT) | instid1(VALU_DEP_2)
	v_mul_hi_u32 v10, v4, v9
	v_mul_lo_u32 v11, v4, v8
	v_mul_hi_u32 v12, v4, v8
	v_mul_hi_u32 v13, v5, v9
	v_mul_lo_u32 v9, v5, v9
	v_mul_hi_u32 v14, v5, v8
	v_mul_lo_u32 v8, v5, v8
	v_add_co_u32 v10, vcc_lo, v10, v11
	v_add_co_ci_u32_e32 v11, vcc_lo, 0, v12, vcc_lo
	s_delay_alu instid0(VALU_DEP_2) | instskip(NEXT) | instid1(VALU_DEP_2)
	v_add_co_u32 v9, vcc_lo, v10, v9
	v_add_co_ci_u32_e32 v9, vcc_lo, v11, v13, vcc_lo
	v_add_co_ci_u32_e32 v10, vcc_lo, 0, v14, vcc_lo
	s_delay_alu instid0(VALU_DEP_2) | instskip(NEXT) | instid1(VALU_DEP_2)
	v_add_co_u32 v8, vcc_lo, v9, v8
	v_add_co_ci_u32_e32 v9, vcc_lo, 0, v10, vcc_lo
	s_delay_alu instid0(VALU_DEP_2) | instskip(NEXT) | instid1(VALU_DEP_2)
	v_add_co_u32 v4, vcc_lo, v4, v8
	v_add_co_ci_u32_e32 v5, vcc_lo, v5, v9, vcc_lo
	s_delay_alu instid0(VALU_DEP_2) | instskip(SKIP_1) | instid1(VALU_DEP_3)
	v_mul_hi_u32 v8, s0, v4
	v_mul_lo_u32 v10, s2, v4
	v_mul_lo_u32 v9, s0, v5
	s_delay_alu instid0(VALU_DEP_1) | instskip(SKIP_1) | instid1(VALU_DEP_2)
	v_add_nc_u32_e32 v8, v8, v9
	v_mul_lo_u32 v9, s0, v4
	v_add_nc_u32_e32 v8, v8, v10
	s_delay_alu instid0(VALU_DEP_2) | instskip(NEXT) | instid1(VALU_DEP_2)
	v_mul_hi_u32 v10, v4, v9
	v_mul_lo_u32 v11, v4, v8
	v_mul_hi_u32 v12, v4, v8
	v_mul_hi_u32 v13, v5, v9
	v_mul_lo_u32 v9, v5, v9
	v_mul_hi_u32 v14, v5, v8
	v_mul_lo_u32 v8, v5, v8
	v_add_co_u32 v10, vcc_lo, v10, v11
	v_add_co_ci_u32_e32 v11, vcc_lo, 0, v12, vcc_lo
	s_delay_alu instid0(VALU_DEP_2) | instskip(NEXT) | instid1(VALU_DEP_2)
	v_add_co_u32 v9, vcc_lo, v10, v9
	v_add_co_ci_u32_e32 v9, vcc_lo, v11, v13, vcc_lo
	v_add_co_ci_u32_e32 v10, vcc_lo, 0, v14, vcc_lo
	s_delay_alu instid0(VALU_DEP_2) | instskip(NEXT) | instid1(VALU_DEP_2)
	v_add_co_u32 v8, vcc_lo, v9, v8
	v_add_co_ci_u32_e32 v9, vcc_lo, 0, v10, vcc_lo
	s_delay_alu instid0(VALU_DEP_2) | instskip(NEXT) | instid1(VALU_DEP_2)
	v_add_co_u32 v10, vcc_lo, v4, v8
	v_add_co_ci_u32_e32 v12, vcc_lo, v5, v9, vcc_lo
	s_delay_alu instid0(VALU_DEP_2) | instskip(SKIP_1) | instid1(VALU_DEP_3)
	v_mul_hi_u32 v13, v6, v10
	v_mad_u64_u32 v[8:9], null, v7, v10, 0
	v_mad_u64_u32 v[4:5], null, v6, v12, 0
	;; [unrolled: 1-line block ×3, first 2 shown]
	s_delay_alu instid0(VALU_DEP_2) | instskip(NEXT) | instid1(VALU_DEP_3)
	v_add_co_u32 v4, vcc_lo, v13, v4
	v_add_co_ci_u32_e32 v5, vcc_lo, 0, v5, vcc_lo
	s_delay_alu instid0(VALU_DEP_2) | instskip(NEXT) | instid1(VALU_DEP_2)
	v_add_co_u32 v4, vcc_lo, v4, v8
	v_add_co_ci_u32_e32 v4, vcc_lo, v5, v9, vcc_lo
	v_add_co_ci_u32_e32 v5, vcc_lo, 0, v11, vcc_lo
	s_delay_alu instid0(VALU_DEP_2) | instskip(NEXT) | instid1(VALU_DEP_2)
	v_add_co_u32 v8, vcc_lo, v4, v10
	v_add_co_ci_u32_e32 v9, vcc_lo, 0, v5, vcc_lo
	s_delay_alu instid0(VALU_DEP_2) | instskip(SKIP_1) | instid1(VALU_DEP_3)
	v_mul_lo_u32 v10, s11, v8
	v_mad_u64_u32 v[4:5], null, s10, v8, 0
	v_mul_lo_u32 v11, s10, v9
	s_delay_alu instid0(VALU_DEP_2) | instskip(NEXT) | instid1(VALU_DEP_2)
	v_sub_co_u32 v4, vcc_lo, v6, v4
	v_add3_u32 v5, v5, v11, v10
	s_delay_alu instid0(VALU_DEP_1) | instskip(NEXT) | instid1(VALU_DEP_1)
	v_sub_nc_u32_e32 v10, v7, v5
	v_subrev_co_ci_u32_e64 v10, s0, s11, v10, vcc_lo
	v_add_co_u32 v11, s0, v8, 2
	s_delay_alu instid0(VALU_DEP_1) | instskip(SKIP_3) | instid1(VALU_DEP_3)
	v_add_co_ci_u32_e64 v12, s0, 0, v9, s0
	v_sub_co_u32 v13, s0, v4, s10
	v_sub_co_ci_u32_e32 v5, vcc_lo, v7, v5, vcc_lo
	v_subrev_co_ci_u32_e64 v10, s0, 0, v10, s0
	v_cmp_le_u32_e32 vcc_lo, s10, v13
	s_delay_alu instid0(VALU_DEP_3) | instskip(SKIP_1) | instid1(VALU_DEP_4)
	v_cmp_eq_u32_e64 s0, s11, v5
	v_cndmask_b32_e64 v13, 0, -1, vcc_lo
	v_cmp_le_u32_e32 vcc_lo, s11, v10
	v_cndmask_b32_e64 v14, 0, -1, vcc_lo
	v_cmp_le_u32_e32 vcc_lo, s10, v4
	;; [unrolled: 2-line block ×3, first 2 shown]
	v_cndmask_b32_e64 v15, 0, -1, vcc_lo
	v_cmp_eq_u32_e32 vcc_lo, s11, v10
	s_delay_alu instid0(VALU_DEP_2) | instskip(SKIP_3) | instid1(VALU_DEP_3)
	v_cndmask_b32_e64 v4, v15, v4, s0
	v_cndmask_b32_e32 v10, v14, v13, vcc_lo
	v_add_co_u32 v13, vcc_lo, v8, 1
	v_add_co_ci_u32_e32 v14, vcc_lo, 0, v9, vcc_lo
	v_cmp_ne_u32_e32 vcc_lo, 0, v10
	s_delay_alu instid0(VALU_DEP_2) | instskip(SKIP_1) | instid1(VALU_DEP_2)
	v_dual_cndmask_b32 v5, v14, v12 :: v_dual_cndmask_b32 v10, v13, v11
	v_cmp_ne_u32_e32 vcc_lo, 0, v4
	v_dual_cndmask_b32 v5, v9, v5 :: v_dual_cndmask_b32 v4, v8, v10
.LBB26_7:
	s_and_not1_saveexec_b32 s0, s1
	s_cbranch_execz .LBB26_9
; %bb.8:
	v_cvt_f32_u32_e32 v4, s10
	s_sub_i32 s1, 0, s10
	s_delay_alu instid0(VALU_DEP_1) | instskip(SKIP_2) | instid1(VALU_DEP_1)
	v_rcp_iflag_f32_e32 v4, v4
	s_waitcnt_depctr 0xfff
	v_mul_f32_e32 v4, 0x4f7ffffe, v4
	v_cvt_u32_f32_e32 v4, v4
	s_delay_alu instid0(VALU_DEP_1) | instskip(NEXT) | instid1(VALU_DEP_1)
	v_mul_lo_u32 v5, s1, v4
	v_mul_hi_u32 v5, v4, v5
	s_delay_alu instid0(VALU_DEP_1) | instskip(NEXT) | instid1(VALU_DEP_1)
	v_add_nc_u32_e32 v4, v4, v5
	v_mul_hi_u32 v4, v6, v4
	s_delay_alu instid0(VALU_DEP_1) | instskip(SKIP_1) | instid1(VALU_DEP_2)
	v_mul_lo_u32 v5, v4, s10
	v_add_nc_u32_e32 v8, 1, v4
	v_sub_nc_u32_e32 v5, v6, v5
	s_delay_alu instid0(VALU_DEP_1) | instskip(SKIP_1) | instid1(VALU_DEP_2)
	v_subrev_nc_u32_e32 v9, s10, v5
	v_cmp_le_u32_e32 vcc_lo, s10, v5
	v_dual_cndmask_b32 v5, v5, v9 :: v_dual_cndmask_b32 v4, v4, v8
	s_delay_alu instid0(VALU_DEP_1) | instskip(NEXT) | instid1(VALU_DEP_2)
	v_cmp_le_u32_e32 vcc_lo, s10, v5
	v_dual_mov_b32 v5, 0 :: v_dual_add_nc_u32 v8, 1, v4
	s_delay_alu instid0(VALU_DEP_1)
	v_cndmask_b32_e32 v4, v4, v8, vcc_lo
.LBB26_9:
	s_or_b32 exec_lo, exec_lo, s0
	s_delay_alu instid0(VALU_DEP_1) | instskip(NEXT) | instid1(VALU_DEP_2)
	v_mul_lo_u32 v12, v5, s10
	v_mul_lo_u32 v13, v4, s11
	v_mad_u64_u32 v[8:9], null, v4, s10, 0
	v_mad_u64_u32 v[10:11], null, v2, s6, v[4:5]
	v_mul_lo_u32 v2, v2, s7
	v_mul_lo_u32 v3, v3, s6
	s_delay_alu instid0(VALU_DEP_4) | instskip(NEXT) | instid1(VALU_DEP_2)
	v_add3_u32 v4, v9, v13, v12
	v_add3_u32 v5, v3, v11, v2
	v_sub_co_u32 v2, vcc_lo, v6, v8
	s_delay_alu instid0(VALU_DEP_3) | instskip(SKIP_1) | instid1(VALU_DEP_4)
	v_sub_co_ci_u32_e32 v3, vcc_lo, v7, v4, vcc_lo
	v_mul_lo_u32 v6, v10, s5
	v_mul_lo_u32 v7, v5, s4
                                        ; implicit-def: $vgpr8
	s_delay_alu instid0(VALU_DEP_3) | instskip(NEXT) | instid1(VALU_DEP_1)
	v_mad_u64_u32 v[4:5], null, v10, s4, v[2:3]
	v_add3_u32 v5, v7, v5, v6
	s_delay_alu instid0(VALU_DEP_2) | instskip(NEXT) | instid1(VALU_DEP_2)
	v_cvt_f64_u32_e32 v[6:7], v4
	v_cvt_f64_u32_e32 v[2:3], v5
	v_cmp_lt_u64_e32 vcc_lo, 0x3fffffff, v[4:5]
                                        ; implicit-def: $vgpr4_vgpr5
	s_delay_alu instid0(VALU_DEP_2) | instskip(NEXT) | instid1(VALU_DEP_1)
	v_ldexp_f64 v[2:3], v[2:3], 32
	v_add_f64 v[6:7], v[2:3], v[6:7]
                                        ; implicit-def: $vgpr2_vgpr3
	s_and_saveexec_b32 s0, vcc_lo
	s_delay_alu instid0(SALU_CYCLE_1)
	s_xor_b32 s1, exec_lo, s0
	s_cbranch_execz .LBB26_11
; %bb.10:
	s_delay_alu instid0(VALU_DEP_1)
	v_trig_preop_f64 v[2:3], v[6:7], 0
	v_trig_preop_f64 v[4:5], v[6:7], 1
	;; [unrolled: 1-line block ×3, first 2 shown]
	v_mov_b32_e32 v24, 0
	s_mov_b32 s2, 0x54442d18
	s_mov_b32 s3, 0x3ff921fb
	;; [unrolled: 1-line block ×4, first 2 shown]
	s_delay_alu instid0(VALU_DEP_4) | instskip(NEXT) | instid1(VALU_DEP_4)
	v_mul_f64 v[8:9], v[2:3], v[6:7]
	v_mul_f64 v[10:11], v[4:5], v[6:7]
	s_delay_alu instid0(VALU_DEP_4) | instskip(NEXT) | instid1(VALU_DEP_3)
	v_mul_f64 v[22:23], v[16:17], v[6:7]
	v_fma_f64 v[2:3], v[2:3], v[6:7], -v[8:9]
	s_delay_alu instid0(VALU_DEP_3) | instskip(NEXT) | instid1(VALU_DEP_3)
	v_fma_f64 v[4:5], v[4:5], v[6:7], -v[10:11]
	v_fma_f64 v[6:7], v[16:17], v[6:7], -v[22:23]
	s_delay_alu instid0(VALU_DEP_3) | instskip(NEXT) | instid1(VALU_DEP_1)
	v_add_f64 v[12:13], v[10:11], v[2:3]
	v_add_f64 v[14:15], v[12:13], -v[10:11]
	v_add_f64 v[20:21], v[8:9], v[12:13]
	s_delay_alu instid0(VALU_DEP_2) | instskip(SKIP_1) | instid1(VALU_DEP_3)
	v_add_f64 v[18:19], v[12:13], -v[14:15]
	v_add_f64 v[2:3], v[2:3], -v[14:15]
	v_ldexp_f64 v[14:15], v[20:21], -2
	v_add_f64 v[8:9], v[20:21], -v[8:9]
	s_delay_alu instid0(VALU_DEP_4) | instskip(SKIP_1) | instid1(VALU_DEP_4)
	v_add_f64 v[10:11], v[10:11], -v[18:19]
	v_add_f64 v[18:19], v[22:23], v[4:5]
	v_cmp_neq_f64_e64 vcc_lo, 0x7ff00000, |v[14:15]|
	s_delay_alu instid0(VALU_DEP_4) | instskip(NEXT) | instid1(VALU_DEP_4)
	v_add_f64 v[8:9], v[12:13], -v[8:9]
	v_add_f64 v[2:3], v[2:3], v[10:11]
	v_fract_f64_e32 v[10:11], v[14:15]
	s_delay_alu instid0(VALU_DEP_2) | instskip(NEXT) | instid1(VALU_DEP_2)
	v_add_f64 v[12:13], v[18:19], v[2:3]
	v_dual_cndmask_b32 v11, 0, v11 :: v_dual_cndmask_b32 v10, 0, v10
	s_delay_alu instid0(VALU_DEP_1) | instskip(NEXT) | instid1(VALU_DEP_3)
	v_ldexp_f64 v[10:11], v[10:11], 2
	v_add_f64 v[14:15], v[8:9], v[12:13]
	s_delay_alu instid0(VALU_DEP_1) | instskip(SKIP_1) | instid1(VALU_DEP_2)
	v_add_f64 v[20:21], v[14:15], v[10:11]
	v_add_f64 v[8:9], v[14:15], -v[8:9]
	v_cmp_gt_f64_e32 vcc_lo, 0, v[20:21]
	v_add_f64 v[20:21], v[18:19], -v[22:23]
	s_delay_alu instid0(VALU_DEP_3) | instskip(SKIP_1) | instid1(VALU_DEP_3)
	v_add_f64 v[8:9], v[12:13], -v[8:9]
	v_cndmask_b32_e64 v25, 0, 0x40100000, vcc_lo
	v_add_f64 v[29:30], v[18:19], -v[20:21]
	v_add_f64 v[4:5], v[4:5], -v[20:21]
	s_delay_alu instid0(VALU_DEP_3) | instskip(SKIP_1) | instid1(VALU_DEP_4)
	v_add_f64 v[10:11], v[10:11], v[24:25]
	v_add_f64 v[25:26], v[12:13], -v[18:19]
	v_add_f64 v[20:21], v[22:23], -v[29:30]
	s_delay_alu instid0(VALU_DEP_3) | instskip(NEXT) | instid1(VALU_DEP_3)
	v_add_f64 v[27:28], v[14:15], v[10:11]
	v_add_f64 v[31:32], v[12:13], -v[25:26]
	v_add_f64 v[2:3], v[2:3], -v[25:26]
	s_delay_alu instid0(VALU_DEP_4) | instskip(NEXT) | instid1(VALU_DEP_4)
	v_add_f64 v[4:5], v[4:5], v[20:21]
	v_cvt_i32_f64_e32 v27, v[27:28]
	s_delay_alu instid0(VALU_DEP_4) | instskip(NEXT) | instid1(VALU_DEP_2)
	v_add_f64 v[18:19], v[18:19], -v[31:32]
	v_cvt_f64_i32_e32 v[25:26], v27
	s_delay_alu instid0(VALU_DEP_2) | instskip(NEXT) | instid1(VALU_DEP_2)
	v_add_f64 v[2:3], v[2:3], v[18:19]
	v_add_f64 v[10:11], v[10:11], -v[25:26]
	s_delay_alu instid0(VALU_DEP_2) | instskip(NEXT) | instid1(VALU_DEP_2)
	v_add_f64 v[2:3], v[4:5], v[2:3]
	v_add_f64 v[4:5], v[14:15], v[10:11]
	s_delay_alu instid0(VALU_DEP_2) | instskip(NEXT) | instid1(VALU_DEP_2)
	v_add_f64 v[2:3], v[6:7], v[2:3]
	v_add_f64 v[6:7], v[4:5], -v[10:11]
	v_cmp_le_f64_e32 vcc_lo, 0.5, v[4:5]
	s_delay_alu instid0(VALU_DEP_3) | instskip(NEXT) | instid1(VALU_DEP_3)
	v_add_f64 v[2:3], v[8:9], v[2:3]
	v_add_f64 v[6:7], v[14:15], -v[6:7]
	v_cndmask_b32_e64 v25, 0, 0x3ff00000, vcc_lo
	v_add_co_ci_u32_e64 v8, s0, 0, v27, vcc_lo
	s_delay_alu instid0(VALU_DEP_2) | instskip(NEXT) | instid1(VALU_DEP_4)
	v_add_f64 v[4:5], v[4:5], -v[24:25]
	v_add_f64 v[2:3], v[2:3], v[6:7]
	s_delay_alu instid0(VALU_DEP_1) | instskip(NEXT) | instid1(VALU_DEP_1)
	v_add_f64 v[6:7], v[4:5], v[2:3]
	v_mul_f64 v[9:10], v[6:7], s[2:3]
	v_add_f64 v[4:5], v[6:7], -v[4:5]
	s_delay_alu instid0(VALU_DEP_2) | instskip(NEXT) | instid1(VALU_DEP_2)
	v_fma_f64 v[11:12], v[6:7], s[2:3], -v[9:10]
	v_add_f64 v[2:3], v[2:3], -v[4:5]
	s_delay_alu instid0(VALU_DEP_2) | instskip(NEXT) | instid1(VALU_DEP_1)
	v_fma_f64 v[4:5], v[6:7], s[4:5], v[11:12]
	v_fma_f64 v[4:5], v[2:3], s[2:3], v[4:5]
	s_delay_alu instid0(VALU_DEP_1) | instskip(NEXT) | instid1(VALU_DEP_1)
	v_add_f64 v[2:3], v[9:10], v[4:5]
	v_add_f64 v[6:7], v[2:3], -v[9:10]
	s_delay_alu instid0(VALU_DEP_1)
	v_add_f64 v[4:5], v[4:5], -v[6:7]
                                        ; implicit-def: $vgpr6_vgpr7
.LBB26_11:
	s_and_not1_saveexec_b32 s0, s1
	s_cbranch_execz .LBB26_13
; %bb.12:
	s_mov_b32 s2, 0x6dc9c883
	s_mov_b32 s3, 0x3fe45f30
	;; [unrolled: 1-line block ×3, first 2 shown]
	s_delay_alu instid0(VALU_DEP_1) | instskip(SKIP_3) | instid1(VALU_DEP_1)
	v_mul_f64 v[2:3], v[6:7], s[2:3]
	s_mov_b32 s2, 0x54442d18
	s_mov_b32 s3, 0xbff921fb
	;; [unrolled: 1-line block ×3, first 2 shown]
	v_rndne_f64_e32 v[8:9], v[2:3]
	s_delay_alu instid0(VALU_DEP_1) | instskip(SKIP_3) | instid1(VALU_DEP_2)
	v_fma_f64 v[2:3], v[8:9], s[2:3], v[6:7]
	v_mul_f64 v[4:5], v[8:9], s[4:5]
	s_mov_b32 s2, 0x252049c0
	s_mov_b32 s3, 0xb97b839a
	v_fma_f64 v[10:11], v[8:9], s[4:5], v[2:3]
	s_delay_alu instid0(VALU_DEP_2) | instskip(SKIP_1) | instid1(VALU_DEP_1)
	v_add_f64 v[6:7], v[2:3], v[4:5]
	s_mov_b32 s5, 0x3c91a626
	v_add_f64 v[2:3], v[2:3], -v[6:7]
	s_delay_alu instid0(VALU_DEP_3) | instskip(NEXT) | instid1(VALU_DEP_2)
	v_add_f64 v[6:7], v[6:7], -v[10:11]
	v_add_f64 v[2:3], v[2:3], v[4:5]
	v_fma_f64 v[4:5], v[8:9], s[4:5], v[4:5]
	s_delay_alu instid0(VALU_DEP_2) | instskip(NEXT) | instid1(VALU_DEP_1)
	v_add_f64 v[2:3], v[6:7], v[2:3]
	v_add_f64 v[2:3], v[2:3], -v[4:5]
	s_delay_alu instid0(VALU_DEP_1) | instskip(SKIP_1) | instid1(VALU_DEP_2)
	v_fma_f64 v[4:5], v[8:9], s[2:3], v[2:3]
	v_cvt_i32_f64_e32 v8, v[8:9]
	v_add_f64 v[2:3], v[10:11], v[4:5]
	s_delay_alu instid0(VALU_DEP_1) | instskip(NEXT) | instid1(VALU_DEP_1)
	v_add_f64 v[6:7], v[2:3], -v[10:11]
	v_add_f64 v[4:5], v[4:5], -v[6:7]
.LBB26_13:
	s_or_b32 exec_lo, exec_lo, s0
	v_mul_f64 v[6:7], v[2:3], v[2:3]
	s_mov_b32 s0, 0xb42fdfa7
	s_mov_b32 s2, 0xf9a43bb8
	;; [unrolled: 1-line block ×4, first 2 shown]
	s_delay_alu instid0(VALU_DEP_2) | instskip(SKIP_1) | instid1(VALU_DEP_3)
	v_mul_f64 v[17:18], v[4:5], 0.5
	v_lshlrev_b64 v[0:1], 1, v[0:1]
	v_fma_f64 v[9:10], v[6:7], s[2:3], s[0:1]
	s_mov_b32 s0, 0x796cde01
	s_mov_b32 s1, 0x3ec71de3
	;; [unrolled: 1-line block ×4, first 2 shown]
	v_mul_f64 v[13:14], v[6:7], 0.5
	v_mul_f64 v[19:20], v[2:3], -v[6:7]
	s_delay_alu instid0(VALU_DEP_3) | instskip(SKIP_2) | instid1(SALU_CYCLE_1)
	v_fma_f64 v[9:10], v[6:7], v[9:10], s[0:1]
	s_mov_b32 s0, 0x46cc5e42
	s_mov_b32 s1, 0xbda907db
	v_fma_f64 v[11:12], v[6:7], s[0:1], s[2:3]
	s_mov_b32 s0, 0x19e83e5c
	s_mov_b32 s1, 0xbf2a01a0
	s_delay_alu instid0(VALU_DEP_4) | instskip(NEXT) | instid1(VALU_DEP_3)
	v_add_f64 v[15:16], -v[13:14], 1.0
	v_fma_f64 v[9:10], v[6:7], v[9:10], s[0:1]
	s_mov_b32 s0, 0xa17f65f6
	s_mov_b32 s1, 0xbe927e4f
	s_delay_alu instid0(VALU_DEP_3) | instid1(SALU_CYCLE_1)
	v_fma_f64 v[11:12], v[6:7], v[11:12], s[0:1]
	s_mov_b32 s0, 0x11110bb3
	s_mov_b32 s1, 0x3f811111
	s_delay_alu instid0(VALU_DEP_3) | instskip(NEXT) | instid1(VALU_DEP_3)
	v_add_f64 v[21:22], -v[15:16], 1.0
	v_fma_f64 v[9:10], v[6:7], v[9:10], s[0:1]
	s_mov_b32 s0, 0x19f4ec90
	s_mov_b32 s1, 0x3efa01a0
	s_delay_alu instid0(VALU_DEP_3) | instid1(SALU_CYCLE_1)
	v_fma_f64 v[11:12], v[6:7], v[11:12], s[0:1]
	s_mov_b32 s0, 0x16c16967
	s_mov_b32 s1, 0xbf56c16c
	s_delay_alu instid0(VALU_DEP_3) | instskip(NEXT) | instid1(VALU_DEP_3)
	v_add_f64 v[13:14], v[21:22], -v[13:14]
	v_fma_f64 v[9:10], v[19:20], v[9:10], v[17:18]
	v_mul_f64 v[17:18], v[6:7], v[6:7]
	s_delay_alu instid0(VALU_DEP_4) | instskip(SKIP_2) | instid1(VALU_DEP_3)
	v_fma_f64 v[11:12], v[6:7], v[11:12], s[0:1]
	s_mov_b32 s1, 0x3fa55555
	s_mov_b32 s0, 0x55555555
	v_fma_f64 v[9:10], v[6:7], v[9:10], -v[4:5]
	v_fma_f64 v[4:5], v[2:3], -v[4:5], v[13:14]
	s_delay_alu instid0(VALU_DEP_3)
	v_fma_f64 v[6:7], v[6:7], v[11:12], s[0:1]
	s_mov_b32 s1, 0xbfc55555
	s_delay_alu instid0(VALU_DEP_3) | instid1(SALU_CYCLE_1)
	v_fma_f64 v[9:10], v[19:20], s[0:1], v[9:10]
	s_delay_alu instid0(VALU_DEP_2) | instskip(SKIP_1) | instid1(VALU_DEP_3)
	v_fma_f64 v[4:5], v[17:18], v[6:7], v[4:5]
	v_lshlrev_b32_e32 v7, 30, v8
	v_add_f64 v[2:3], v[2:3], -v[9:10]
	s_delay_alu instid0(VALU_DEP_3) | instskip(NEXT) | instid1(VALU_DEP_2)
	v_add_f64 v[4:5], v[15:16], v[4:5]
	v_xor_b32_e32 v3, 0x80000000, v3
	v_and_b32_e32 v6, 1, v8
	s_delay_alu instid0(VALU_DEP_1) | instskip(NEXT) | instid1(VALU_DEP_3)
	v_cmp_eq_u32_e32 vcc_lo, 0, v6
	v_dual_cndmask_b32 v3, v3, v5 :: v_dual_and_b32 v6, 0x80000000, v7
	v_cndmask_b32_e32 v2, v2, v4, vcc_lo
	s_delay_alu instid0(VALU_DEP_2) | instskip(SKIP_2) | instid1(VALU_DEP_3)
	v_xor_b32_e32 v4, v3, v6
	v_lshrrev_b32_e32 v5, 8, v3
	v_bfe_u32 v3, v3, 20, 11
	v_and_or_b32 v2, 0x1ff, v4, v2
	v_lshrrev_b32_e32 v4, 16, v4
	s_delay_alu instid0(VALU_DEP_3) | instskip(SKIP_1) | instid1(VALU_DEP_4)
	v_sub_nc_u32_e32 v6, 0x3f1, v3
	v_add_nc_u32_e32 v3, 0xfffffc10, v3
	v_cmp_ne_u32_e32 vcc_lo, 0, v2
	v_cndmask_b32_e64 v2, 0, 1, vcc_lo
	s_delay_alu instid0(VALU_DEP_1) | instskip(SKIP_1) | instid1(VALU_DEP_2)
	v_and_or_b32 v2, 0xffe, v5, v2
	v_med3_i32 v5, v6, 0, 13
	v_or_b32_e32 v6, 0x1000, v2
	v_cmp_ne_u32_e64 s1, 0, v2
	s_delay_alu instid0(VALU_DEP_2) | instskip(NEXT) | instid1(VALU_DEP_1)
	v_lshrrev_b32_e32 v7, v5, v6
	v_lshlrev_b32_e32 v5, v5, v7
	s_delay_alu instid0(VALU_DEP_1) | instskip(SKIP_4) | instid1(VALU_DEP_3)
	v_cmp_ne_u32_e32 vcc_lo, v5, v6
	v_lshl_or_b32 v6, v3, 12, v2
	v_cndmask_b32_e64 v2, 0, 1, s1
	v_cndmask_b32_e64 v5, 0, 1, vcc_lo
	v_cmp_gt_i32_e32 vcc_lo, 1, v3
	v_lshl_or_b32 v2, v2, 9, 0x7c00
	s_delay_alu instid0(VALU_DEP_3) | instskip(NEXT) | instid1(VALU_DEP_1)
	v_or_b32_e32 v5, v7, v5
	v_cndmask_b32_e32 v5, v6, v5, vcc_lo
	s_delay_alu instid0(VALU_DEP_1) | instskip(SKIP_1) | instid1(VALU_DEP_2)
	v_and_b32_e32 v6, 7, v5
	v_lshrrev_b32_e32 v5, 2, v5
	v_cmp_lt_i32_e32 vcc_lo, 5, v6
	v_cmp_eq_u32_e64 s0, 3, v6
	s_delay_alu instid0(VALU_DEP_1) | instskip(NEXT) | instid1(VALU_DEP_3)
	s_or_b32 vcc_lo, s0, vcc_lo
	v_add_co_ci_u32_e32 v5, vcc_lo, 0, v5, vcc_lo
	v_cmp_gt_i32_e32 vcc_lo, 31, v3
	s_delay_alu instid0(VALU_DEP_2) | instskip(SKIP_1) | instid1(VALU_DEP_2)
	v_cndmask_b32_e32 v5, 0x7c00, v5, vcc_lo
	v_cmp_eq_u32_e32 vcc_lo, 0x40f, v3
	v_cndmask_b32_e32 v2, v5, v2, vcc_lo
	v_add_co_u32 v0, vcc_lo, s16, v0
	v_add_co_ci_u32_e32 v1, vcc_lo, s17, v1, vcc_lo
	s_delay_alu instid0(VALU_DEP_3)
	v_and_or_b32 v2, 0x8000, v4, v2
	global_store_b16 v[0:1], v2, off
.LBB26_14:
	s_nop 0
	s_sendmsg sendmsg(MSG_DEALLOC_VGPRS)
	s_endpgm
	.section	.rodata,"a",@progbits
	.p2align	6, 0x0
	.amdhsa_kernel _Z11fill_kernelIDF16_Z21hipblaslt_init_deviceIDF16_Ev8ABC_dims24hipblaslt_initializationbPT_mmmmmEUlmE3_EvS4_mmT0_
		.amdhsa_group_segment_fixed_size 0
		.amdhsa_private_segment_fixed_size 0
		.amdhsa_kernarg_size 312
		.amdhsa_user_sgpr_count 15
		.amdhsa_user_sgpr_dispatch_ptr 0
		.amdhsa_user_sgpr_queue_ptr 0
		.amdhsa_user_sgpr_kernarg_segment_ptr 1
		.amdhsa_user_sgpr_dispatch_id 0
		.amdhsa_user_sgpr_private_segment_size 0
		.amdhsa_wavefront_size32 1
		.amdhsa_uses_dynamic_stack 0
		.amdhsa_enable_private_segment 0
		.amdhsa_system_sgpr_workgroup_id_x 1
		.amdhsa_system_sgpr_workgroup_id_y 0
		.amdhsa_system_sgpr_workgroup_id_z 0
		.amdhsa_system_sgpr_workgroup_info 0
		.amdhsa_system_vgpr_workitem_id 0
		.amdhsa_next_free_vgpr 33
		.amdhsa_next_free_sgpr 20
		.amdhsa_reserve_vcc 1
		.amdhsa_float_round_mode_32 0
		.amdhsa_float_round_mode_16_64 0
		.amdhsa_float_denorm_mode_32 3
		.amdhsa_float_denorm_mode_16_64 3
		.amdhsa_dx10_clamp 1
		.amdhsa_ieee_mode 1
		.amdhsa_fp16_overflow 0
		.amdhsa_workgroup_processor_mode 1
		.amdhsa_memory_ordered 1
		.amdhsa_forward_progress 0
		.amdhsa_shared_vgpr_count 0
		.amdhsa_exception_fp_ieee_invalid_op 0
		.amdhsa_exception_fp_denorm_src 0
		.amdhsa_exception_fp_ieee_div_zero 0
		.amdhsa_exception_fp_ieee_overflow 0
		.amdhsa_exception_fp_ieee_underflow 0
		.amdhsa_exception_fp_ieee_inexact 0
		.amdhsa_exception_int_div_zero 0
	.end_amdhsa_kernel
	.section	.text._Z11fill_kernelIDF16_Z21hipblaslt_init_deviceIDF16_Ev8ABC_dims24hipblaslt_initializationbPT_mmmmmEUlmE3_EvS4_mmT0_,"axG",@progbits,_Z11fill_kernelIDF16_Z21hipblaslt_init_deviceIDF16_Ev8ABC_dims24hipblaslt_initializationbPT_mmmmmEUlmE3_EvS4_mmT0_,comdat
.Lfunc_end26:
	.size	_Z11fill_kernelIDF16_Z21hipblaslt_init_deviceIDF16_Ev8ABC_dims24hipblaslt_initializationbPT_mmmmmEUlmE3_EvS4_mmT0_, .Lfunc_end26-_Z11fill_kernelIDF16_Z21hipblaslt_init_deviceIDF16_Ev8ABC_dims24hipblaslt_initializationbPT_mmmmmEUlmE3_EvS4_mmT0_
                                        ; -- End function
	.section	.AMDGPU.csdata,"",@progbits
; Kernel info:
; codeLenInByte = 3828
; NumSgprs: 22
; NumVgprs: 33
; ScratchSize: 0
; MemoryBound: 0
; FloatMode: 240
; IeeeMode: 1
; LDSByteSize: 0 bytes/workgroup (compile time only)
; SGPRBlocks: 2
; VGPRBlocks: 4
; NumSGPRsForWavesPerEU: 22
; NumVGPRsForWavesPerEU: 33
; Occupancy: 16
; WaveLimiterHint : 0
; COMPUTE_PGM_RSRC2:SCRATCH_EN: 0
; COMPUTE_PGM_RSRC2:USER_SGPR: 15
; COMPUTE_PGM_RSRC2:TRAP_HANDLER: 0
; COMPUTE_PGM_RSRC2:TGID_X_EN: 1
; COMPUTE_PGM_RSRC2:TGID_Y_EN: 0
; COMPUTE_PGM_RSRC2:TGID_Z_EN: 0
; COMPUTE_PGM_RSRC2:TIDIG_COMP_CNT: 0
	.section	.text._Z11fill_kernelIDF16_Z21hipblaslt_init_deviceIDF16_Ev8ABC_dims24hipblaslt_initializationbPT_mmmmmEUlmE4_EvS4_mmT0_,"axG",@progbits,_Z11fill_kernelIDF16_Z21hipblaslt_init_deviceIDF16_Ev8ABC_dims24hipblaslt_initializationbPT_mmmmmEUlmE4_EvS4_mmT0_,comdat
	.protected	_Z11fill_kernelIDF16_Z21hipblaslt_init_deviceIDF16_Ev8ABC_dims24hipblaslt_initializationbPT_mmmmmEUlmE4_EvS4_mmT0_ ; -- Begin function _Z11fill_kernelIDF16_Z21hipblaslt_init_deviceIDF16_Ev8ABC_dims24hipblaslt_initializationbPT_mmmmmEUlmE4_EvS4_mmT0_
	.globl	_Z11fill_kernelIDF16_Z21hipblaslt_init_deviceIDF16_Ev8ABC_dims24hipblaslt_initializationbPT_mmmmmEUlmE4_EvS4_mmT0_
	.p2align	8
	.type	_Z11fill_kernelIDF16_Z21hipblaslt_init_deviceIDF16_Ev8ABC_dims24hipblaslt_initializationbPT_mmmmmEUlmE4_EvS4_mmT0_,@function
_Z11fill_kernelIDF16_Z21hipblaslt_init_deviceIDF16_Ev8ABC_dims24hipblaslt_initializationbPT_mmmmmEUlmE4_EvS4_mmT0_: ; @_Z11fill_kernelIDF16_Z21hipblaslt_init_deviceIDF16_Ev8ABC_dims24hipblaslt_initializationbPT_mmmmmEUlmE4_EvS4_mmT0_
; %bb.0:
	s_clause 0x1
	s_load_b32 s2, s[0:1], 0x2c
	s_load_b128 s[4:7], s[0:1], 0x0
	s_waitcnt lgkmcnt(0)
	s_and_b32 s2, s2, 0xffff
	s_delay_alu instid0(SALU_CYCLE_1) | instskip(SKIP_2) | instid1(VALU_DEP_1)
	v_mad_u64_u32 v[1:2], null, s15, s2, v[0:1]
	v_mov_b32_e32 v2, 0
	s_mov_b32 s2, exec_lo
	v_cmpx_gt_u64_e64 s[6:7], v[1:2]
	s_cbranch_execz .LBB27_2
; %bb.1:
	s_load_b64 s[0:1], s[0:1], 0x10
	s_mov_b32 s2, 0x19660d
	s_waitcnt lgkmcnt(0)
	v_add_co_u32 v0, s0, v1, s0
	s_delay_alu instid0(VALU_DEP_1) | instskip(SKIP_1) | instid1(VALU_DEP_2)
	v_add_co_ci_u32_e64 v1, null, 0, s1, s0
	s_mov_b32 s0, 0xffe00000
	v_mad_u64_u32 v[2:3], null, v0, s2, 0x3c6ef35f
	s_mov_b32 s1, 0x41efffff
	s_delay_alu instid0(VALU_DEP_1) | instskip(SKIP_1) | instid1(VALU_DEP_2)
	v_mad_u64_u32 v[4:5], null, 0x19660d, v1, v[3:4]
	v_lshlrev_b64 v[0:1], 1, v[0:1]
	v_mov_b32_e32 v3, v4
	s_delay_alu instid0(VALU_DEP_1) | instskip(NEXT) | instid1(VALU_DEP_1)
	v_lshlrev_b64 v[4:5], 13, v[2:3]
	v_xor_b32_e32 v3, v5, v3
	s_delay_alu instid0(VALU_DEP_2) | instskip(NEXT) | instid1(VALU_DEP_1)
	v_xor_b32_e32 v2, v4, v2
	v_lshrrev_b64 v[4:5], 17, v[2:3]
	s_delay_alu instid0(VALU_DEP_1) | instskip(NEXT) | instid1(VALU_DEP_2)
	v_xor_b32_e32 v3, v5, v3
	v_xor_b32_e32 v2, v4, v2
	s_delay_alu instid0(VALU_DEP_1) | instskip(NEXT) | instid1(VALU_DEP_1)
	v_lshlrev_b64 v[4:5], 5, v[2:3]
	v_xor_b32_e32 v3, v5, v3
	s_delay_alu instid0(VALU_DEP_2) | instskip(NEXT) | instid1(VALU_DEP_1)
	v_xor_b32_e32 v2, v4, v2
	v_lshlrev_b64 v[4:5], 13, v[2:3]
	s_delay_alu instid0(VALU_DEP_1) | instskip(NEXT) | instid1(VALU_DEP_2)
	v_xor_b32_e32 v3, v5, v3
	v_xor_b32_e32 v2, v4, v2
	s_delay_alu instid0(VALU_DEP_1) | instskip(NEXT) | instid1(VALU_DEP_1)
	v_lshrrev_b64 v[4:5], 17, v[2:3]
	v_xor_b32_e32 v3, v5, v3
	s_delay_alu instid0(VALU_DEP_2) | instskip(NEXT) | instid1(VALU_DEP_1)
	v_xor_b32_e32 v2, v4, v2
	v_lshlrev_b64 v[4:5], 5, v[2:3]
	s_delay_alu instid0(VALU_DEP_1) | instskip(NEXT) | instid1(VALU_DEP_2)
	v_xor_b32_e32 v3, v5, v3
	v_xor_b32_e32 v2, v4, v2
	s_delay_alu instid0(VALU_DEP_1) | instskip(NEXT) | instid1(VALU_DEP_1)
	v_lshlrev_b64 v[4:5], 13, v[2:3]
	v_xor_b32_e32 v3, v5, v3
	s_delay_alu instid0(VALU_DEP_2) | instskip(NEXT) | instid1(VALU_DEP_1)
	v_xor_b32_e32 v2, v4, v2
	v_alignbit_b32 v3, v3, v2, 17
	s_delay_alu instid0(VALU_DEP_1) | instskip(NEXT) | instid1(VALU_DEP_1)
	v_xor_b32_e32 v2, v3, v2
	v_lshlrev_b32_e32 v3, 5, v2
	s_delay_alu instid0(VALU_DEP_1) | instskip(NEXT) | instid1(VALU_DEP_1)
	v_xor_b32_e32 v2, v3, v2
	v_cvt_f64_u32_e32 v[2:3], v2
	s_delay_alu instid0(VALU_DEP_1) | instskip(SKIP_1) | instid1(VALU_DEP_2)
	v_div_scale_f64 v[4:5], null, s[0:1], s[0:1], v[2:3]
	v_div_scale_f64 v[10:11], vcc_lo, v[2:3], s[0:1], v[2:3]
	v_rcp_f64_e32 v[6:7], v[4:5]
	s_waitcnt_depctr 0xfff
	v_fma_f64 v[8:9], -v[4:5], v[6:7], 1.0
	s_delay_alu instid0(VALU_DEP_1) | instskip(NEXT) | instid1(VALU_DEP_1)
	v_fma_f64 v[6:7], v[6:7], v[8:9], v[6:7]
	v_fma_f64 v[8:9], -v[4:5], v[6:7], 1.0
	s_delay_alu instid0(VALU_DEP_1) | instskip(NEXT) | instid1(VALU_DEP_1)
	v_fma_f64 v[6:7], v[6:7], v[8:9], v[6:7]
	v_mul_f64 v[8:9], v[10:11], v[6:7]
	s_delay_alu instid0(VALU_DEP_1) | instskip(NEXT) | instid1(VALU_DEP_1)
	v_fma_f64 v[4:5], -v[4:5], v[8:9], v[10:11]
	v_div_fmas_f64 v[4:5], v[4:5], v[6:7], v[8:9]
	s_delay_alu instid0(VALU_DEP_1) | instskip(NEXT) | instid1(VALU_DEP_1)
	v_div_fixup_f64 v[2:3], v[4:5], s[0:1], v[2:3]
	v_add_f64 v[2:3], v[2:3], -0.5
	s_delay_alu instid0(VALU_DEP_1) | instskip(SKIP_3) | instid1(VALU_DEP_4)
	v_and_or_b32 v2, 0x1ff, v3, v2
	v_lshrrev_b32_e32 v4, 8, v3
	v_bfe_u32 v5, v3, 20, 11
	v_lshrrev_b32_e32 v3, 16, v3
	v_cmp_ne_u32_e32 vcc_lo, 0, v2
	s_delay_alu instid0(VALU_DEP_3) | instskip(SKIP_2) | instid1(VALU_DEP_1)
	v_sub_nc_u32_e32 v6, 0x3f1, v5
	v_add_nc_u32_e32 v5, 0xfffffc10, v5
	v_cndmask_b32_e64 v2, 0, 1, vcc_lo
	v_and_or_b32 v2, 0xffe, v4, v2
	s_delay_alu instid0(VALU_DEP_4) | instskip(NEXT) | instid1(VALU_DEP_2)
	v_med3_i32 v4, v6, 0, 13
	v_or_b32_e32 v6, 0x1000, v2
	v_cmp_ne_u32_e64 s1, 0, v2
	s_delay_alu instid0(VALU_DEP_2) | instskip(NEXT) | instid1(VALU_DEP_1)
	v_lshrrev_b32_e32 v7, v4, v6
	v_lshlrev_b32_e32 v4, v4, v7
	s_delay_alu instid0(VALU_DEP_1) | instskip(SKIP_4) | instid1(VALU_DEP_3)
	v_cmp_ne_u32_e32 vcc_lo, v4, v6
	v_lshl_or_b32 v6, v5, 12, v2
	v_cndmask_b32_e64 v2, 0, 1, s1
	v_cndmask_b32_e64 v4, 0, 1, vcc_lo
	v_cmp_gt_i32_e32 vcc_lo, 1, v5
	v_lshl_or_b32 v2, v2, 9, 0x7c00
	s_delay_alu instid0(VALU_DEP_3) | instskip(NEXT) | instid1(VALU_DEP_1)
	v_or_b32_e32 v4, v7, v4
	v_cndmask_b32_e32 v4, v6, v4, vcc_lo
	s_delay_alu instid0(VALU_DEP_1) | instskip(SKIP_1) | instid1(VALU_DEP_2)
	v_and_b32_e32 v6, 7, v4
	v_lshrrev_b32_e32 v4, 2, v4
	v_cmp_lt_i32_e32 vcc_lo, 5, v6
	v_cmp_eq_u32_e64 s0, 3, v6
	s_delay_alu instid0(VALU_DEP_1) | instskip(NEXT) | instid1(VALU_DEP_3)
	s_or_b32 vcc_lo, s0, vcc_lo
	v_add_co_ci_u32_e32 v4, vcc_lo, 0, v4, vcc_lo
	v_cmp_gt_i32_e32 vcc_lo, 31, v5
	s_delay_alu instid0(VALU_DEP_2) | instskip(SKIP_1) | instid1(VALU_DEP_2)
	v_cndmask_b32_e32 v4, 0x7c00, v4, vcc_lo
	v_cmp_eq_u32_e32 vcc_lo, 0x40f, v5
	v_cndmask_b32_e32 v2, v4, v2, vcc_lo
	v_add_co_u32 v0, vcc_lo, s4, v0
	v_add_co_ci_u32_e32 v1, vcc_lo, s5, v1, vcc_lo
	s_delay_alu instid0(VALU_DEP_3)
	v_and_or_b32 v2, 0x8000, v3, v2
	global_store_b16 v[0:1], v2, off
.LBB27_2:
	s_nop 0
	s_sendmsg sendmsg(MSG_DEALLOC_VGPRS)
	s_endpgm
	.section	.rodata,"a",@progbits
	.p2align	6, 0x0
	.amdhsa_kernel _Z11fill_kernelIDF16_Z21hipblaslt_init_deviceIDF16_Ev8ABC_dims24hipblaslt_initializationbPT_mmmmmEUlmE4_EvS4_mmT0_
		.amdhsa_group_segment_fixed_size 0
		.amdhsa_private_segment_fixed_size 0
		.amdhsa_kernarg_size 288
		.amdhsa_user_sgpr_count 15
		.amdhsa_user_sgpr_dispatch_ptr 0
		.amdhsa_user_sgpr_queue_ptr 0
		.amdhsa_user_sgpr_kernarg_segment_ptr 1
		.amdhsa_user_sgpr_dispatch_id 0
		.amdhsa_user_sgpr_private_segment_size 0
		.amdhsa_wavefront_size32 1
		.amdhsa_uses_dynamic_stack 0
		.amdhsa_enable_private_segment 0
		.amdhsa_system_sgpr_workgroup_id_x 1
		.amdhsa_system_sgpr_workgroup_id_y 0
		.amdhsa_system_sgpr_workgroup_id_z 0
		.amdhsa_system_sgpr_workgroup_info 0
		.amdhsa_system_vgpr_workitem_id 0
		.amdhsa_next_free_vgpr 12
		.amdhsa_next_free_sgpr 16
		.amdhsa_reserve_vcc 1
		.amdhsa_float_round_mode_32 0
		.amdhsa_float_round_mode_16_64 0
		.amdhsa_float_denorm_mode_32 3
		.amdhsa_float_denorm_mode_16_64 3
		.amdhsa_dx10_clamp 1
		.amdhsa_ieee_mode 1
		.amdhsa_fp16_overflow 0
		.amdhsa_workgroup_processor_mode 1
		.amdhsa_memory_ordered 1
		.amdhsa_forward_progress 0
		.amdhsa_shared_vgpr_count 0
		.amdhsa_exception_fp_ieee_invalid_op 0
		.amdhsa_exception_fp_denorm_src 0
		.amdhsa_exception_fp_ieee_div_zero 0
		.amdhsa_exception_fp_ieee_overflow 0
		.amdhsa_exception_fp_ieee_underflow 0
		.amdhsa_exception_fp_ieee_inexact 0
		.amdhsa_exception_int_div_zero 0
	.end_amdhsa_kernel
	.section	.text._Z11fill_kernelIDF16_Z21hipblaslt_init_deviceIDF16_Ev8ABC_dims24hipblaslt_initializationbPT_mmmmmEUlmE4_EvS4_mmT0_,"axG",@progbits,_Z11fill_kernelIDF16_Z21hipblaslt_init_deviceIDF16_Ev8ABC_dims24hipblaslt_initializationbPT_mmmmmEUlmE4_EvS4_mmT0_,comdat
.Lfunc_end27:
	.size	_Z11fill_kernelIDF16_Z21hipblaslt_init_deviceIDF16_Ev8ABC_dims24hipblaslt_initializationbPT_mmmmmEUlmE4_EvS4_mmT0_, .Lfunc_end27-_Z11fill_kernelIDF16_Z21hipblaslt_init_deviceIDF16_Ev8ABC_dims24hipblaslt_initializationbPT_mmmmmEUlmE4_EvS4_mmT0_
                                        ; -- End function
	.section	.AMDGPU.csdata,"",@progbits
; Kernel info:
; codeLenInByte = 752
; NumSgprs: 18
; NumVgprs: 12
; ScratchSize: 0
; MemoryBound: 0
; FloatMode: 240
; IeeeMode: 1
; LDSByteSize: 0 bytes/workgroup (compile time only)
; SGPRBlocks: 2
; VGPRBlocks: 1
; NumSGPRsForWavesPerEU: 18
; NumVGPRsForWavesPerEU: 12
; Occupancy: 16
; WaveLimiterHint : 0
; COMPUTE_PGM_RSRC2:SCRATCH_EN: 0
; COMPUTE_PGM_RSRC2:USER_SGPR: 15
; COMPUTE_PGM_RSRC2:TRAP_HANDLER: 0
; COMPUTE_PGM_RSRC2:TGID_X_EN: 1
; COMPUTE_PGM_RSRC2:TGID_Y_EN: 0
; COMPUTE_PGM_RSRC2:TGID_Z_EN: 0
; COMPUTE_PGM_RSRC2:TIDIG_COMP_CNT: 0
	.section	.text._Z11fill_kernelIDF16_Z21hipblaslt_init_deviceIDF16_Ev8ABC_dims24hipblaslt_initializationbPT_mmmmmEUlmE5_EvS4_mmT0_,"axG",@progbits,_Z11fill_kernelIDF16_Z21hipblaslt_init_deviceIDF16_Ev8ABC_dims24hipblaslt_initializationbPT_mmmmmEUlmE5_EvS4_mmT0_,comdat
	.protected	_Z11fill_kernelIDF16_Z21hipblaslt_init_deviceIDF16_Ev8ABC_dims24hipblaslt_initializationbPT_mmmmmEUlmE5_EvS4_mmT0_ ; -- Begin function _Z11fill_kernelIDF16_Z21hipblaslt_init_deviceIDF16_Ev8ABC_dims24hipblaslt_initializationbPT_mmmmmEUlmE5_EvS4_mmT0_
	.globl	_Z11fill_kernelIDF16_Z21hipblaslt_init_deviceIDF16_Ev8ABC_dims24hipblaslt_initializationbPT_mmmmmEUlmE5_EvS4_mmT0_
	.p2align	8
	.type	_Z11fill_kernelIDF16_Z21hipblaslt_init_deviceIDF16_Ev8ABC_dims24hipblaslt_initializationbPT_mmmmmEUlmE5_EvS4_mmT0_,@function
_Z11fill_kernelIDF16_Z21hipblaslt_init_deviceIDF16_Ev8ABC_dims24hipblaslt_initializationbPT_mmmmmEUlmE5_EvS4_mmT0_: ; @_Z11fill_kernelIDF16_Z21hipblaslt_init_deviceIDF16_Ev8ABC_dims24hipblaslt_initializationbPT_mmmmmEUlmE5_EvS4_mmT0_
; %bb.0:
	s_clause 0x1
	s_load_b32 s2, s[0:1], 0x2c
	s_load_b128 s[4:7], s[0:1], 0x0
	s_waitcnt lgkmcnt(0)
	s_and_b32 s2, s2, 0xffff
	s_delay_alu instid0(SALU_CYCLE_1) | instskip(SKIP_2) | instid1(VALU_DEP_1)
	v_mad_u64_u32 v[1:2], null, s15, s2, v[0:1]
	v_mov_b32_e32 v2, 0
	s_mov_b32 s2, exec_lo
	v_cmpx_gt_u64_e64 s[6:7], v[1:2]
	s_cbranch_execz .LBB28_2
; %bb.1:
	s_load_b64 s[0:1], s[0:1], 0x10
	v_lshlrev_b64 v[0:1], 1, v[1:2]
	v_mov_b32_e32 v2, 0x7bf8
	s_waitcnt lgkmcnt(0)
	s_lshl_b64 s[0:1], s[0:1], 1
	s_delay_alu instid0(SALU_CYCLE_1)
	s_add_u32 s0, s0, s4
	s_addc_u32 s1, s1, s5
	v_add_co_u32 v0, vcc_lo, s0, v0
	v_add_co_ci_u32_e32 v1, vcc_lo, s1, v1, vcc_lo
	global_store_b16 v[0:1], v2, off
.LBB28_2:
	s_nop 0
	s_sendmsg sendmsg(MSG_DEALLOC_VGPRS)
	s_endpgm
	.section	.rodata,"a",@progbits
	.p2align	6, 0x0
	.amdhsa_kernel _Z11fill_kernelIDF16_Z21hipblaslt_init_deviceIDF16_Ev8ABC_dims24hipblaslt_initializationbPT_mmmmmEUlmE5_EvS4_mmT0_
		.amdhsa_group_segment_fixed_size 0
		.amdhsa_private_segment_fixed_size 0
		.amdhsa_kernarg_size 288
		.amdhsa_user_sgpr_count 15
		.amdhsa_user_sgpr_dispatch_ptr 0
		.amdhsa_user_sgpr_queue_ptr 0
		.amdhsa_user_sgpr_kernarg_segment_ptr 1
		.amdhsa_user_sgpr_dispatch_id 0
		.amdhsa_user_sgpr_private_segment_size 0
		.amdhsa_wavefront_size32 1
		.amdhsa_uses_dynamic_stack 0
		.amdhsa_enable_private_segment 0
		.amdhsa_system_sgpr_workgroup_id_x 1
		.amdhsa_system_sgpr_workgroup_id_y 0
		.amdhsa_system_sgpr_workgroup_id_z 0
		.amdhsa_system_sgpr_workgroup_info 0
		.amdhsa_system_vgpr_workitem_id 0
		.amdhsa_next_free_vgpr 3
		.amdhsa_next_free_sgpr 16
		.amdhsa_reserve_vcc 1
		.amdhsa_float_round_mode_32 0
		.amdhsa_float_round_mode_16_64 0
		.amdhsa_float_denorm_mode_32 3
		.amdhsa_float_denorm_mode_16_64 3
		.amdhsa_dx10_clamp 1
		.amdhsa_ieee_mode 1
		.amdhsa_fp16_overflow 0
		.amdhsa_workgroup_processor_mode 1
		.amdhsa_memory_ordered 1
		.amdhsa_forward_progress 0
		.amdhsa_shared_vgpr_count 0
		.amdhsa_exception_fp_ieee_invalid_op 0
		.amdhsa_exception_fp_denorm_src 0
		.amdhsa_exception_fp_ieee_div_zero 0
		.amdhsa_exception_fp_ieee_overflow 0
		.amdhsa_exception_fp_ieee_underflow 0
		.amdhsa_exception_fp_ieee_inexact 0
		.amdhsa_exception_int_div_zero 0
	.end_amdhsa_kernel
	.section	.text._Z11fill_kernelIDF16_Z21hipblaslt_init_deviceIDF16_Ev8ABC_dims24hipblaslt_initializationbPT_mmmmmEUlmE5_EvS4_mmT0_,"axG",@progbits,_Z11fill_kernelIDF16_Z21hipblaslt_init_deviceIDF16_Ev8ABC_dims24hipblaslt_initializationbPT_mmmmmEUlmE5_EvS4_mmT0_,comdat
.Lfunc_end28:
	.size	_Z11fill_kernelIDF16_Z21hipblaslt_init_deviceIDF16_Ev8ABC_dims24hipblaslt_initializationbPT_mmmmmEUlmE5_EvS4_mmT0_, .Lfunc_end28-_Z11fill_kernelIDF16_Z21hipblaslt_init_deviceIDF16_Ev8ABC_dims24hipblaslt_initializationbPT_mmmmmEUlmE5_EvS4_mmT0_
                                        ; -- End function
	.section	.AMDGPU.csdata,"",@progbits
; Kernel info:
; codeLenInByte = 140
; NumSgprs: 18
; NumVgprs: 3
; ScratchSize: 0
; MemoryBound: 0
; FloatMode: 240
; IeeeMode: 1
; LDSByteSize: 0 bytes/workgroup (compile time only)
; SGPRBlocks: 2
; VGPRBlocks: 0
; NumSGPRsForWavesPerEU: 18
; NumVGPRsForWavesPerEU: 3
; Occupancy: 16
; WaveLimiterHint : 0
; COMPUTE_PGM_RSRC2:SCRATCH_EN: 0
; COMPUTE_PGM_RSRC2:USER_SGPR: 15
; COMPUTE_PGM_RSRC2:TRAP_HANDLER: 0
; COMPUTE_PGM_RSRC2:TGID_X_EN: 1
; COMPUTE_PGM_RSRC2:TGID_Y_EN: 0
; COMPUTE_PGM_RSRC2:TGID_Z_EN: 0
; COMPUTE_PGM_RSRC2:TIDIG_COMP_CNT: 0
	.section	.text._Z11fill_kernelIDF16_Z21hipblaslt_init_deviceIDF16_Ev8ABC_dims24hipblaslt_initializationbPT_mmmmmEUlmE6_EvS4_mmT0_,"axG",@progbits,_Z11fill_kernelIDF16_Z21hipblaslt_init_deviceIDF16_Ev8ABC_dims24hipblaslt_initializationbPT_mmmmmEUlmE6_EvS4_mmT0_,comdat
	.protected	_Z11fill_kernelIDF16_Z21hipblaslt_init_deviceIDF16_Ev8ABC_dims24hipblaslt_initializationbPT_mmmmmEUlmE6_EvS4_mmT0_ ; -- Begin function _Z11fill_kernelIDF16_Z21hipblaslt_init_deviceIDF16_Ev8ABC_dims24hipblaslt_initializationbPT_mmmmmEUlmE6_EvS4_mmT0_
	.globl	_Z11fill_kernelIDF16_Z21hipblaslt_init_deviceIDF16_Ev8ABC_dims24hipblaslt_initializationbPT_mmmmmEUlmE6_EvS4_mmT0_
	.p2align	8
	.type	_Z11fill_kernelIDF16_Z21hipblaslt_init_deviceIDF16_Ev8ABC_dims24hipblaslt_initializationbPT_mmmmmEUlmE6_EvS4_mmT0_,@function
_Z11fill_kernelIDF16_Z21hipblaslt_init_deviceIDF16_Ev8ABC_dims24hipblaslt_initializationbPT_mmmmmEUlmE6_EvS4_mmT0_: ; @_Z11fill_kernelIDF16_Z21hipblaslt_init_deviceIDF16_Ev8ABC_dims24hipblaslt_initializationbPT_mmmmmEUlmE6_EvS4_mmT0_
; %bb.0:
	s_clause 0x1
	s_load_b32 s2, s[0:1], 0x2c
	s_load_b128 s[4:7], s[0:1], 0x0
	s_waitcnt lgkmcnt(0)
	s_and_b32 s2, s2, 0xffff
	s_delay_alu instid0(SALU_CYCLE_1) | instskip(SKIP_2) | instid1(VALU_DEP_1)
	v_mad_u64_u32 v[1:2], null, s15, s2, v[0:1]
	v_mov_b32_e32 v2, 0
	s_mov_b32 s2, exec_lo
	v_cmpx_gt_u64_e64 s[6:7], v[1:2]
	s_cbranch_execz .LBB29_2
; %bb.1:
	s_load_b64 s[0:1], s[0:1], 0x10
	v_lshlrev_b64 v[0:1], 1, v[1:2]
	v_mov_b32_e32 v2, 0x3fc
	s_waitcnt lgkmcnt(0)
	s_lshl_b64 s[0:1], s[0:1], 1
	s_delay_alu instid0(SALU_CYCLE_1)
	s_add_u32 s0, s0, s4
	s_addc_u32 s1, s1, s5
	v_add_co_u32 v0, vcc_lo, s0, v0
	v_add_co_ci_u32_e32 v1, vcc_lo, s1, v1, vcc_lo
	global_store_b16 v[0:1], v2, off
.LBB29_2:
	s_nop 0
	s_sendmsg sendmsg(MSG_DEALLOC_VGPRS)
	s_endpgm
	.section	.rodata,"a",@progbits
	.p2align	6, 0x0
	.amdhsa_kernel _Z11fill_kernelIDF16_Z21hipblaslt_init_deviceIDF16_Ev8ABC_dims24hipblaslt_initializationbPT_mmmmmEUlmE6_EvS4_mmT0_
		.amdhsa_group_segment_fixed_size 0
		.amdhsa_private_segment_fixed_size 0
		.amdhsa_kernarg_size 288
		.amdhsa_user_sgpr_count 15
		.amdhsa_user_sgpr_dispatch_ptr 0
		.amdhsa_user_sgpr_queue_ptr 0
		.amdhsa_user_sgpr_kernarg_segment_ptr 1
		.amdhsa_user_sgpr_dispatch_id 0
		.amdhsa_user_sgpr_private_segment_size 0
		.amdhsa_wavefront_size32 1
		.amdhsa_uses_dynamic_stack 0
		.amdhsa_enable_private_segment 0
		.amdhsa_system_sgpr_workgroup_id_x 1
		.amdhsa_system_sgpr_workgroup_id_y 0
		.amdhsa_system_sgpr_workgroup_id_z 0
		.amdhsa_system_sgpr_workgroup_info 0
		.amdhsa_system_vgpr_workitem_id 0
		.amdhsa_next_free_vgpr 3
		.amdhsa_next_free_sgpr 16
		.amdhsa_reserve_vcc 1
		.amdhsa_float_round_mode_32 0
		.amdhsa_float_round_mode_16_64 0
		.amdhsa_float_denorm_mode_32 3
		.amdhsa_float_denorm_mode_16_64 3
		.amdhsa_dx10_clamp 1
		.amdhsa_ieee_mode 1
		.amdhsa_fp16_overflow 0
		.amdhsa_workgroup_processor_mode 1
		.amdhsa_memory_ordered 1
		.amdhsa_forward_progress 0
		.amdhsa_shared_vgpr_count 0
		.amdhsa_exception_fp_ieee_invalid_op 0
		.amdhsa_exception_fp_denorm_src 0
		.amdhsa_exception_fp_ieee_div_zero 0
		.amdhsa_exception_fp_ieee_overflow 0
		.amdhsa_exception_fp_ieee_underflow 0
		.amdhsa_exception_fp_ieee_inexact 0
		.amdhsa_exception_int_div_zero 0
	.end_amdhsa_kernel
	.section	.text._Z11fill_kernelIDF16_Z21hipblaslt_init_deviceIDF16_Ev8ABC_dims24hipblaslt_initializationbPT_mmmmmEUlmE6_EvS4_mmT0_,"axG",@progbits,_Z11fill_kernelIDF16_Z21hipblaslt_init_deviceIDF16_Ev8ABC_dims24hipblaslt_initializationbPT_mmmmmEUlmE6_EvS4_mmT0_,comdat
.Lfunc_end29:
	.size	_Z11fill_kernelIDF16_Z21hipblaslt_init_deviceIDF16_Ev8ABC_dims24hipblaslt_initializationbPT_mmmmmEUlmE6_EvS4_mmT0_, .Lfunc_end29-_Z11fill_kernelIDF16_Z21hipblaslt_init_deviceIDF16_Ev8ABC_dims24hipblaslt_initializationbPT_mmmmmEUlmE6_EvS4_mmT0_
                                        ; -- End function
	.section	.AMDGPU.csdata,"",@progbits
; Kernel info:
; codeLenInByte = 140
; NumSgprs: 18
; NumVgprs: 3
; ScratchSize: 0
; MemoryBound: 0
; FloatMode: 240
; IeeeMode: 1
; LDSByteSize: 0 bytes/workgroup (compile time only)
; SGPRBlocks: 2
; VGPRBlocks: 0
; NumSGPRsForWavesPerEU: 18
; NumVGPRsForWavesPerEU: 3
; Occupancy: 16
; WaveLimiterHint : 0
; COMPUTE_PGM_RSRC2:SCRATCH_EN: 0
; COMPUTE_PGM_RSRC2:USER_SGPR: 15
; COMPUTE_PGM_RSRC2:TRAP_HANDLER: 0
; COMPUTE_PGM_RSRC2:TGID_X_EN: 1
; COMPUTE_PGM_RSRC2:TGID_Y_EN: 0
; COMPUTE_PGM_RSRC2:TGID_Z_EN: 0
; COMPUTE_PGM_RSRC2:TIDIG_COMP_CNT: 0
	.section	.text._Z11fill_kernelIDF16_Z21hipblaslt_init_deviceIDF16_Ev8ABC_dims24hipblaslt_initializationbPT_mmmmmEUlmE7_EvS4_mmT0_,"axG",@progbits,_Z11fill_kernelIDF16_Z21hipblaslt_init_deviceIDF16_Ev8ABC_dims24hipblaslt_initializationbPT_mmmmmEUlmE7_EvS4_mmT0_,comdat
	.protected	_Z11fill_kernelIDF16_Z21hipblaslt_init_deviceIDF16_Ev8ABC_dims24hipblaslt_initializationbPT_mmmmmEUlmE7_EvS4_mmT0_ ; -- Begin function _Z11fill_kernelIDF16_Z21hipblaslt_init_deviceIDF16_Ev8ABC_dims24hipblaslt_initializationbPT_mmmmmEUlmE7_EvS4_mmT0_
	.globl	_Z11fill_kernelIDF16_Z21hipblaslt_init_deviceIDF16_Ev8ABC_dims24hipblaslt_initializationbPT_mmmmmEUlmE7_EvS4_mmT0_
	.p2align	8
	.type	_Z11fill_kernelIDF16_Z21hipblaslt_init_deviceIDF16_Ev8ABC_dims24hipblaslt_initializationbPT_mmmmmEUlmE7_EvS4_mmT0_,@function
_Z11fill_kernelIDF16_Z21hipblaslt_init_deviceIDF16_Ev8ABC_dims24hipblaslt_initializationbPT_mmmmmEUlmE7_EvS4_mmT0_: ; @_Z11fill_kernelIDF16_Z21hipblaslt_init_deviceIDF16_Ev8ABC_dims24hipblaslt_initializationbPT_mmmmmEUlmE7_EvS4_mmT0_
; %bb.0:
	s_clause 0x1
	s_load_b32 s2, s[0:1], 0x2c
	s_load_b128 s[4:7], s[0:1], 0x0
	s_waitcnt lgkmcnt(0)
	s_and_b32 s2, s2, 0xffff
	s_delay_alu instid0(SALU_CYCLE_1) | instskip(SKIP_2) | instid1(VALU_DEP_1)
	v_mad_u64_u32 v[1:2], null, s15, s2, v[0:1]
	v_mov_b32_e32 v2, 0
	s_mov_b32 s2, exec_lo
	v_cmpx_gt_u64_e64 s[6:7], v[1:2]
	s_cbranch_execz .LBB30_2
; %bb.1:
	s_load_b64 s[0:1], s[0:1], 0x10
	s_mov_b32 s2, 0x19660d
	s_waitcnt lgkmcnt(0)
	v_add_co_u32 v0, s0, v1, s0
	s_delay_alu instid0(VALU_DEP_1) | instskip(NEXT) | instid1(VALU_DEP_2)
	v_add_co_ci_u32_e64 v1, null, 0, s1, s0
	v_mad_u64_u32 v[2:3], null, v0, s2, 0x3c6ef35f
	s_delay_alu instid0(VALU_DEP_1) | instskip(SKIP_1) | instid1(VALU_DEP_1)
	v_mad_u64_u32 v[4:5], null, 0x19660d, v1, v[3:4]
	v_lshlrev_b64 v[0:1], 1, v[0:1]
	v_add_co_u32 v0, vcc_lo, s4, v0
	s_delay_alu instid0(VALU_DEP_3) | instskip(NEXT) | instid1(VALU_DEP_3)
	v_mov_b32_e32 v3, v4
	v_add_co_ci_u32_e32 v1, vcc_lo, s5, v1, vcc_lo
	s_delay_alu instid0(VALU_DEP_2) | instskip(NEXT) | instid1(VALU_DEP_1)
	v_lshlrev_b64 v[4:5], 13, v[2:3]
	v_xor_b32_e32 v3, v5, v3
	s_delay_alu instid0(VALU_DEP_2) | instskip(NEXT) | instid1(VALU_DEP_1)
	v_xor_b32_e32 v2, v4, v2
	v_lshrrev_b64 v[4:5], 17, v[2:3]
	s_delay_alu instid0(VALU_DEP_1) | instskip(NEXT) | instid1(VALU_DEP_2)
	v_xor_b32_e32 v3, v5, v3
	v_xor_b32_e32 v2, v4, v2
	s_delay_alu instid0(VALU_DEP_1) | instskip(NEXT) | instid1(VALU_DEP_1)
	v_lshlrev_b64 v[4:5], 5, v[2:3]
	v_xor_b32_e32 v3, v5, v3
	s_delay_alu instid0(VALU_DEP_2) | instskip(NEXT) | instid1(VALU_DEP_1)
	v_xor_b32_e32 v2, v4, v2
	v_lshlrev_b64 v[4:5], 13, v[2:3]
	s_delay_alu instid0(VALU_DEP_1) | instskip(NEXT) | instid1(VALU_DEP_2)
	v_xor_b32_e32 v3, v5, v3
	v_xor_b32_e32 v2, v4, v2
	s_delay_alu instid0(VALU_DEP_1) | instskip(NEXT) | instid1(VALU_DEP_1)
	v_lshrrev_b64 v[4:5], 17, v[2:3]
	v_xor_b32_e32 v3, v5, v3
	s_delay_alu instid0(VALU_DEP_2) | instskip(NEXT) | instid1(VALU_DEP_1)
	v_xor_b32_e32 v2, v4, v2
	v_lshlrev_b64 v[4:5], 5, v[2:3]
	s_delay_alu instid0(VALU_DEP_1) | instskip(NEXT) | instid1(VALU_DEP_2)
	v_xor_b32_e32 v3, v5, v3
	v_xor_b32_e32 v2, v4, v2
	s_delay_alu instid0(VALU_DEP_1) | instskip(NEXT) | instid1(VALU_DEP_1)
	v_lshlrev_b64 v[4:5], 13, v[2:3]
	v_xor_b32_e32 v3, v5, v3
	s_delay_alu instid0(VALU_DEP_2) | instskip(NEXT) | instid1(VALU_DEP_1)
	v_xor_b32_e32 v2, v4, v2
	v_alignbit_b32 v3, v3, v2, 17
	s_delay_alu instid0(VALU_DEP_1) | instskip(NEXT) | instid1(VALU_DEP_1)
	v_xor_b32_e32 v2, v3, v2
	v_lshlrev_b32_e32 v3, 5, v2
	s_delay_alu instid0(VALU_DEP_1) | instskip(NEXT) | instid1(VALU_DEP_1)
	v_xor_b32_e32 v2, v3, v2
	v_mul_hi_u32 v3, 0xcccccccd, v2
	s_delay_alu instid0(VALU_DEP_1) | instskip(NEXT) | instid1(VALU_DEP_1)
	v_lshrrev_b32_e32 v3, 3, v3
	v_mul_lo_u32 v3, v3, 10
	s_delay_alu instid0(VALU_DEP_1) | instskip(NEXT) | instid1(VALU_DEP_1)
	v_sub_nc_u32_e32 v2, v2, v3
	v_add_nc_u32_e32 v2, 1, v2
	s_delay_alu instid0(VALU_DEP_1) | instskip(NEXT) | instid1(VALU_DEP_1)
	v_cvt_f32_u32_e32 v2, v2
	v_cvt_f16_f32_e32 v2, v2
	global_store_b16 v[0:1], v2, off
.LBB30_2:
	s_nop 0
	s_sendmsg sendmsg(MSG_DEALLOC_VGPRS)
	s_endpgm
	.section	.rodata,"a",@progbits
	.p2align	6, 0x0
	.amdhsa_kernel _Z11fill_kernelIDF16_Z21hipblaslt_init_deviceIDF16_Ev8ABC_dims24hipblaslt_initializationbPT_mmmmmEUlmE7_EvS4_mmT0_
		.amdhsa_group_segment_fixed_size 0
		.amdhsa_private_segment_fixed_size 0
		.amdhsa_kernarg_size 288
		.amdhsa_user_sgpr_count 15
		.amdhsa_user_sgpr_dispatch_ptr 0
		.amdhsa_user_sgpr_queue_ptr 0
		.amdhsa_user_sgpr_kernarg_segment_ptr 1
		.amdhsa_user_sgpr_dispatch_id 0
		.amdhsa_user_sgpr_private_segment_size 0
		.amdhsa_wavefront_size32 1
		.amdhsa_uses_dynamic_stack 0
		.amdhsa_enable_private_segment 0
		.amdhsa_system_sgpr_workgroup_id_x 1
		.amdhsa_system_sgpr_workgroup_id_y 0
		.amdhsa_system_sgpr_workgroup_id_z 0
		.amdhsa_system_sgpr_workgroup_info 0
		.amdhsa_system_vgpr_workitem_id 0
		.amdhsa_next_free_vgpr 6
		.amdhsa_next_free_sgpr 16
		.amdhsa_reserve_vcc 1
		.amdhsa_float_round_mode_32 0
		.amdhsa_float_round_mode_16_64 0
		.amdhsa_float_denorm_mode_32 3
		.amdhsa_float_denorm_mode_16_64 3
		.amdhsa_dx10_clamp 1
		.amdhsa_ieee_mode 1
		.amdhsa_fp16_overflow 0
		.amdhsa_workgroup_processor_mode 1
		.amdhsa_memory_ordered 1
		.amdhsa_forward_progress 0
		.amdhsa_shared_vgpr_count 0
		.amdhsa_exception_fp_ieee_invalid_op 0
		.amdhsa_exception_fp_denorm_src 0
		.amdhsa_exception_fp_ieee_div_zero 0
		.amdhsa_exception_fp_ieee_overflow 0
		.amdhsa_exception_fp_ieee_underflow 0
		.amdhsa_exception_fp_ieee_inexact 0
		.amdhsa_exception_int_div_zero 0
	.end_amdhsa_kernel
	.section	.text._Z11fill_kernelIDF16_Z21hipblaslt_init_deviceIDF16_Ev8ABC_dims24hipblaslt_initializationbPT_mmmmmEUlmE7_EvS4_mmT0_,"axG",@progbits,_Z11fill_kernelIDF16_Z21hipblaslt_init_deviceIDF16_Ev8ABC_dims24hipblaslt_initializationbPT_mmmmmEUlmE7_EvS4_mmT0_,comdat
.Lfunc_end30:
	.size	_Z11fill_kernelIDF16_Z21hipblaslt_init_deviceIDF16_Ev8ABC_dims24hipblaslt_initializationbPT_mmmmmEUlmE7_EvS4_mmT0_, .Lfunc_end30-_Z11fill_kernelIDF16_Z21hipblaslt_init_deviceIDF16_Ev8ABC_dims24hipblaslt_initializationbPT_mmmmmEUlmE7_EvS4_mmT0_
                                        ; -- End function
	.section	.AMDGPU.csdata,"",@progbits
; Kernel info:
; codeLenInByte = 416
; NumSgprs: 18
; NumVgprs: 6
; ScratchSize: 0
; MemoryBound: 0
; FloatMode: 240
; IeeeMode: 1
; LDSByteSize: 0 bytes/workgroup (compile time only)
; SGPRBlocks: 2
; VGPRBlocks: 0
; NumSGPRsForWavesPerEU: 18
; NumVGPRsForWavesPerEU: 6
; Occupancy: 16
; WaveLimiterHint : 0
; COMPUTE_PGM_RSRC2:SCRATCH_EN: 0
; COMPUTE_PGM_RSRC2:USER_SGPR: 15
; COMPUTE_PGM_RSRC2:TRAP_HANDLER: 0
; COMPUTE_PGM_RSRC2:TGID_X_EN: 1
; COMPUTE_PGM_RSRC2:TGID_Y_EN: 0
; COMPUTE_PGM_RSRC2:TGID_Z_EN: 0
; COMPUTE_PGM_RSRC2:TIDIG_COMP_CNT: 0
	.section	.text._Z11fill_kernelIDF16_Z21hipblaslt_init_deviceIDF16_Ev8ABC_dims24hipblaslt_initializationbPT_mmmmmEUlmE8_EvS4_mmT0_,"axG",@progbits,_Z11fill_kernelIDF16_Z21hipblaslt_init_deviceIDF16_Ev8ABC_dims24hipblaslt_initializationbPT_mmmmmEUlmE8_EvS4_mmT0_,comdat
	.protected	_Z11fill_kernelIDF16_Z21hipblaslt_init_deviceIDF16_Ev8ABC_dims24hipblaslt_initializationbPT_mmmmmEUlmE8_EvS4_mmT0_ ; -- Begin function _Z11fill_kernelIDF16_Z21hipblaslt_init_deviceIDF16_Ev8ABC_dims24hipblaslt_initializationbPT_mmmmmEUlmE8_EvS4_mmT0_
	.globl	_Z11fill_kernelIDF16_Z21hipblaslt_init_deviceIDF16_Ev8ABC_dims24hipblaslt_initializationbPT_mmmmmEUlmE8_EvS4_mmT0_
	.p2align	8
	.type	_Z11fill_kernelIDF16_Z21hipblaslt_init_deviceIDF16_Ev8ABC_dims24hipblaslt_initializationbPT_mmmmmEUlmE8_EvS4_mmT0_,@function
_Z11fill_kernelIDF16_Z21hipblaslt_init_deviceIDF16_Ev8ABC_dims24hipblaslt_initializationbPT_mmmmmEUlmE8_EvS4_mmT0_: ; @_Z11fill_kernelIDF16_Z21hipblaslt_init_deviceIDF16_Ev8ABC_dims24hipblaslt_initializationbPT_mmmmmEUlmE8_EvS4_mmT0_
; %bb.0:
	s_clause 0x1
	s_load_b32 s2, s[0:1], 0x2c
	s_load_b128 s[4:7], s[0:1], 0x0
	s_waitcnt lgkmcnt(0)
	s_and_b32 s2, s2, 0xffff
	s_delay_alu instid0(SALU_CYCLE_1) | instskip(SKIP_2) | instid1(VALU_DEP_1)
	v_mad_u64_u32 v[1:2], null, s15, s2, v[0:1]
	v_mov_b32_e32 v2, 0
	s_mov_b32 s2, exec_lo
	v_cmpx_gt_u64_e64 s[6:7], v[1:2]
	s_cbranch_execz .LBB31_2
; %bb.1:
	s_load_b64 s[0:1], s[0:1], 0x10
	v_lshlrev_b64 v[0:1], 1, v[1:2]
	s_waitcnt lgkmcnt(0)
	s_lshl_b64 s[0:1], s[0:1], 1
	s_delay_alu instid0(SALU_CYCLE_1) | instskip(SKIP_1) | instid1(VALU_DEP_1)
	s_add_u32 s0, s0, s4
	s_addc_u32 s1, s1, s5
	v_add_co_u32 v0, vcc_lo, s0, v0
	v_add_co_ci_u32_e32 v1, vcc_lo, s1, v1, vcc_lo
	global_store_b16 v[0:1], v2, off
.LBB31_2:
	s_nop 0
	s_sendmsg sendmsg(MSG_DEALLOC_VGPRS)
	s_endpgm
	.section	.rodata,"a",@progbits
	.p2align	6, 0x0
	.amdhsa_kernel _Z11fill_kernelIDF16_Z21hipblaslt_init_deviceIDF16_Ev8ABC_dims24hipblaslt_initializationbPT_mmmmmEUlmE8_EvS4_mmT0_
		.amdhsa_group_segment_fixed_size 0
		.amdhsa_private_segment_fixed_size 0
		.amdhsa_kernarg_size 288
		.amdhsa_user_sgpr_count 15
		.amdhsa_user_sgpr_dispatch_ptr 0
		.amdhsa_user_sgpr_queue_ptr 0
		.amdhsa_user_sgpr_kernarg_segment_ptr 1
		.amdhsa_user_sgpr_dispatch_id 0
		.amdhsa_user_sgpr_private_segment_size 0
		.amdhsa_wavefront_size32 1
		.amdhsa_uses_dynamic_stack 0
		.amdhsa_enable_private_segment 0
		.amdhsa_system_sgpr_workgroup_id_x 1
		.amdhsa_system_sgpr_workgroup_id_y 0
		.amdhsa_system_sgpr_workgroup_id_z 0
		.amdhsa_system_sgpr_workgroup_info 0
		.amdhsa_system_vgpr_workitem_id 0
		.amdhsa_next_free_vgpr 3
		.amdhsa_next_free_sgpr 16
		.amdhsa_reserve_vcc 1
		.amdhsa_float_round_mode_32 0
		.amdhsa_float_round_mode_16_64 0
		.amdhsa_float_denorm_mode_32 3
		.amdhsa_float_denorm_mode_16_64 3
		.amdhsa_dx10_clamp 1
		.amdhsa_ieee_mode 1
		.amdhsa_fp16_overflow 0
		.amdhsa_workgroup_processor_mode 1
		.amdhsa_memory_ordered 1
		.amdhsa_forward_progress 0
		.amdhsa_shared_vgpr_count 0
		.amdhsa_exception_fp_ieee_invalid_op 0
		.amdhsa_exception_fp_denorm_src 0
		.amdhsa_exception_fp_ieee_div_zero 0
		.amdhsa_exception_fp_ieee_overflow 0
		.amdhsa_exception_fp_ieee_underflow 0
		.amdhsa_exception_fp_ieee_inexact 0
		.amdhsa_exception_int_div_zero 0
	.end_amdhsa_kernel
	.section	.text._Z11fill_kernelIDF16_Z21hipblaslt_init_deviceIDF16_Ev8ABC_dims24hipblaslt_initializationbPT_mmmmmEUlmE8_EvS4_mmT0_,"axG",@progbits,_Z11fill_kernelIDF16_Z21hipblaslt_init_deviceIDF16_Ev8ABC_dims24hipblaslt_initializationbPT_mmmmmEUlmE8_EvS4_mmT0_,comdat
.Lfunc_end31:
	.size	_Z11fill_kernelIDF16_Z21hipblaslt_init_deviceIDF16_Ev8ABC_dims24hipblaslt_initializationbPT_mmmmmEUlmE8_EvS4_mmT0_, .Lfunc_end31-_Z11fill_kernelIDF16_Z21hipblaslt_init_deviceIDF16_Ev8ABC_dims24hipblaslt_initializationbPT_mmmmmEUlmE8_EvS4_mmT0_
                                        ; -- End function
	.section	.AMDGPU.csdata,"",@progbits
; Kernel info:
; codeLenInByte = 132
; NumSgprs: 18
; NumVgprs: 3
; ScratchSize: 0
; MemoryBound: 0
; FloatMode: 240
; IeeeMode: 1
; LDSByteSize: 0 bytes/workgroup (compile time only)
; SGPRBlocks: 2
; VGPRBlocks: 0
; NumSGPRsForWavesPerEU: 18
; NumVGPRsForWavesPerEU: 3
; Occupancy: 16
; WaveLimiterHint : 0
; COMPUTE_PGM_RSRC2:SCRATCH_EN: 0
; COMPUTE_PGM_RSRC2:USER_SGPR: 15
; COMPUTE_PGM_RSRC2:TRAP_HANDLER: 0
; COMPUTE_PGM_RSRC2:TGID_X_EN: 1
; COMPUTE_PGM_RSRC2:TGID_Y_EN: 0
; COMPUTE_PGM_RSRC2:TGID_Z_EN: 0
; COMPUTE_PGM_RSRC2:TIDIG_COMP_CNT: 0
	.section	.text._Z11fill_kernelIDF16_Z21hipblaslt_init_deviceIDF16_Ev8ABC_dims24hipblaslt_initializationbPT_mmmmmEUlmE9_EvS4_mmT0_,"axG",@progbits,_Z11fill_kernelIDF16_Z21hipblaslt_init_deviceIDF16_Ev8ABC_dims24hipblaslt_initializationbPT_mmmmmEUlmE9_EvS4_mmT0_,comdat
	.protected	_Z11fill_kernelIDF16_Z21hipblaslt_init_deviceIDF16_Ev8ABC_dims24hipblaslt_initializationbPT_mmmmmEUlmE9_EvS4_mmT0_ ; -- Begin function _Z11fill_kernelIDF16_Z21hipblaslt_init_deviceIDF16_Ev8ABC_dims24hipblaslt_initializationbPT_mmmmmEUlmE9_EvS4_mmT0_
	.globl	_Z11fill_kernelIDF16_Z21hipblaslt_init_deviceIDF16_Ev8ABC_dims24hipblaslt_initializationbPT_mmmmmEUlmE9_EvS4_mmT0_
	.p2align	8
	.type	_Z11fill_kernelIDF16_Z21hipblaslt_init_deviceIDF16_Ev8ABC_dims24hipblaslt_initializationbPT_mmmmmEUlmE9_EvS4_mmT0_,@function
_Z11fill_kernelIDF16_Z21hipblaslt_init_deviceIDF16_Ev8ABC_dims24hipblaslt_initializationbPT_mmmmmEUlmE9_EvS4_mmT0_: ; @_Z11fill_kernelIDF16_Z21hipblaslt_init_deviceIDF16_Ev8ABC_dims24hipblaslt_initializationbPT_mmmmmEUlmE9_EvS4_mmT0_
; %bb.0:
	s_clause 0x1
	s_load_b32 s2, s[0:1], 0x2c
	s_load_b128 s[4:7], s[0:1], 0x0
	s_waitcnt lgkmcnt(0)
	s_and_b32 s2, s2, 0xffff
	s_delay_alu instid0(SALU_CYCLE_1) | instskip(SKIP_2) | instid1(VALU_DEP_1)
	v_mad_u64_u32 v[1:2], null, s15, s2, v[0:1]
	v_mov_b32_e32 v2, 0
	s_mov_b32 s2, exec_lo
	v_cmpx_gt_u64_e64 s[6:7], v[1:2]
	s_cbranch_execz .LBB32_6
; %bb.1:
	s_clause 0x1
	s_load_b64 s[2:3], s[0:1], 0x10
	s_load_b32 s0, s[0:1], 0x18
	s_waitcnt lgkmcnt(0)
	v_add_co_u32 v0, s1, v1, s2
	s_delay_alu instid0(VALU_DEP_1) | instskip(NEXT) | instid1(VALU_DEP_2)
	v_add_co_ci_u32_e64 v1, null, 0, s3, s1
	v_add_nc_u32_e32 v6, s0, v0
	s_mov_b32 s0, 0xb90ffb1d
	s_delay_alu instid0(VALU_DEP_1) | instid1(SALU_CYCLE_1)
	v_mad_u64_u32 v[2:3], null, v6, s0, 0xdc6d3ef
	v_mad_u64_u32 v[3:4], null, 0x10dcd, v6, 1
	s_mov_b32 s0, 0x6ab9d291
	s_delay_alu instid0(VALU_DEP_2) | instskip(NEXT) | instid1(VALU_DEP_2)
	v_lshrrev_b32_e32 v5, 2, v2
	v_lshlrev_b32_e32 v7, 4, v3
	s_delay_alu instid0(VALU_DEP_2) | instskip(SKIP_2) | instid1(VALU_DEP_2)
	v_xor_b32_e32 v2, v5, v2
	v_mad_u64_u32 v[4:5], null, v6, s0, 0xffffffffdfb3c992
	s_mov_b32 s0, exec_lo
	v_lshlrev_b32_e32 v5, 1, v2
	s_delay_alu instid0(VALU_DEP_2) | instskip(NEXT) | instid1(VALU_DEP_2)
	v_lshrrev_b32_e32 v8, 2, v4
	v_xor_b32_e32 v5, v7, v5
	s_delay_alu instid0(VALU_DEP_2) | instskip(NEXT) | instid1(VALU_DEP_2)
	v_xor_b32_e32 v7, v8, v4
	v_xor3_b32 v3, v5, v3, v2
                                        ; implicit-def: $vgpr5
	s_delay_alu instid0(VALU_DEP_2) | instskip(NEXT) | instid1(VALU_DEP_2)
	v_lshlrev_b32_e32 v2, 1, v7
	v_lshlrev_b32_e32 v4, 4, v3
	s_delay_alu instid0(VALU_DEP_1) | instskip(SKIP_1) | instid1(VALU_DEP_2)
	v_xor_b32_e32 v2, v2, v4
	v_xor_b32_e32 v4, 0x587c5, v6
                                        ; implicit-def: $vgpr6
	v_xor3_b32 v2, v2, v7, v3
	s_delay_alu instid0(VALU_DEP_1) | instskip(NEXT) | instid1(VALU_DEP_1)
	v_add3_u32 v2, v4, v2, 0xb0f8a
	v_cvt_f32_u32_e32 v2, v2
	s_delay_alu instid0(VALU_DEP_1) | instskip(NEXT) | instid1(VALU_DEP_1)
	v_mul_f32_e32 v2, 0x2f800000, v2
	v_mul_f32_e32 v2, 0x40c90fdb, v2
	s_delay_alu instid0(VALU_DEP_1)
	v_cmpx_ngt_f32_e32 0x48000000, v2
	s_xor_b32 s3, exec_lo, s0
	s_cbranch_execz .LBB32_3
; %bb.2:
	s_mov_b32 s0, 0x7fffff
	v_mov_b32_e32 v7, 0
	v_and_or_b32 v15, v2, s0, 0x800000
	v_lshrrev_b32_e32 v12, 23, v2
	s_delay_alu instid0(VALU_DEP_2) | instskip(NEXT) | instid1(VALU_DEP_2)
	v_mad_u64_u32 v[5:6], null, 0xfe5163ab, v15, 0
	v_add_nc_u32_e32 v13, 0xffffff88, v12
	s_delay_alu instid0(VALU_DEP_1) | instskip(NEXT) | instid1(VALU_DEP_3)
	v_cmp_lt_u32_e32 vcc_lo, 63, v13
	v_mad_u64_u32 v[8:9], null, 0x3c439041, v15, v[6:7]
	v_cndmask_b32_e64 v14, 0, 0xffffffc0, vcc_lo
	s_delay_alu instid0(VALU_DEP_2) | instskip(NEXT) | instid1(VALU_DEP_2)
	v_mov_b32_e32 v6, v9
	v_add_nc_u32_e32 v14, v14, v13
	s_delay_alu instid0(VALU_DEP_2) | instskip(NEXT) | instid1(VALU_DEP_2)
	v_mad_u64_u32 v[9:10], null, 0xdb629599, v15, v[6:7]
	v_cmp_lt_u32_e64 s0, 31, v14
	s_delay_alu instid0(VALU_DEP_1) | instskip(NEXT) | instid1(VALU_DEP_3)
	v_cndmask_b32_e64 v16, 0, 0xffffffe0, s0
	v_dual_mov_b32 v6, v10 :: v_dual_cndmask_b32 v5, v9, v5
	s_delay_alu instid0(VALU_DEP_2) | instskip(NEXT) | instid1(VALU_DEP_2)
	v_add_nc_u32_e32 v16, v16, v14
	v_mad_u64_u32 v[10:11], null, 0xf534ddc0, v15, v[6:7]
	s_delay_alu instid0(VALU_DEP_2) | instskip(NEXT) | instid1(VALU_DEP_2)
	v_cmp_lt_u32_e64 s1, 31, v16
	v_mov_b32_e32 v6, v11
	s_delay_alu instid0(VALU_DEP_3) | instskip(NEXT) | instid1(VALU_DEP_2)
	v_cndmask_b32_e32 v8, v10, v8, vcc_lo
	v_mad_u64_u32 v[11:12], null, 0xfc2757d1, v15, v[6:7]
	s_delay_alu instid0(VALU_DEP_2) | instskip(NEXT) | instid1(VALU_DEP_2)
	v_cndmask_b32_e64 v5, v8, v5, s0
	v_mov_b32_e32 v6, v12
	s_delay_alu instid0(VALU_DEP_1) | instskip(NEXT) | instid1(VALU_DEP_1)
	v_mad_u64_u32 v[12:13], null, 0x4e441529, v15, v[6:7]
	v_mov_b32_e32 v6, v13
	s_delay_alu instid0(VALU_DEP_1) | instskip(SKIP_1) | instid1(VALU_DEP_1)
	v_mad_u64_u32 v[13:14], null, 0xa2f9836e, v15, v[6:7]
	v_cndmask_b32_e64 v6, 0, 0xffffffe0, s1
	v_dual_cndmask_b32 v7, v12, v10 :: v_dual_add_nc_u32 v6, v6, v16
	s_delay_alu instid0(VALU_DEP_3) | instskip(NEXT) | instid1(VALU_DEP_4)
	v_cndmask_b32_e32 v13, v13, v11, vcc_lo
	v_dual_cndmask_b32 v11, v11, v9 :: v_dual_cndmask_b32 v12, v14, v12
	s_delay_alu instid0(VALU_DEP_3) | instskip(NEXT) | instid1(VALU_DEP_3)
	v_cmp_eq_u32_e64 s2, 0, v6
	v_cndmask_b32_e64 v10, v13, v7, s0
	s_delay_alu instid0(VALU_DEP_3) | instskip(NEXT) | instid1(VALU_DEP_4)
	v_cndmask_b32_e64 v7, v7, v11, s0
	v_cndmask_b32_e64 v12, v12, v13, s0
	v_sub_nc_u32_e32 v13, 32, v6
	v_cndmask_b32_e64 v11, v11, v8, s0
	s_delay_alu instid0(VALU_DEP_3) | instskip(SKIP_1) | instid1(VALU_DEP_3)
	v_cndmask_b32_e64 v12, v12, v10, s1
	v_cndmask_b32_e64 v10, v10, v7, s1
	;; [unrolled: 1-line block ×4, first 2 shown]
	s_delay_alu instid0(VALU_DEP_3) | instskip(NEXT) | instid1(VALU_DEP_3)
	v_alignbit_b32 v14, v12, v10, v13
	v_alignbit_b32 v15, v10, v7, v13
	s_delay_alu instid0(VALU_DEP_3) | instskip(NEXT) | instid1(VALU_DEP_3)
	v_alignbit_b32 v13, v7, v5, v13
	v_cndmask_b32_e64 v6, v14, v12, s2
	s_delay_alu instid0(VALU_DEP_3) | instskip(NEXT) | instid1(VALU_DEP_3)
	v_cndmask_b32_e64 v9, v15, v10, s2
	v_cndmask_b32_e64 v7, v13, v7, s2
	s_delay_alu instid0(VALU_DEP_3) | instskip(NEXT) | instid1(VALU_DEP_3)
	v_bfe_u32 v10, v6, 29, 1
	v_alignbit_b32 v8, v6, v9, 30
	s_delay_alu instid0(VALU_DEP_3) | instskip(SKIP_1) | instid1(VALU_DEP_4)
	v_alignbit_b32 v9, v9, v7, 30
	v_alignbit_b32 v5, v7, v5, 30
	v_sub_nc_u32_e32 v12, 0, v10
	s_delay_alu instid0(VALU_DEP_1) | instskip(SKIP_3) | instid1(VALU_DEP_4)
	v_xor_b32_e32 v11, v8, v12
	v_cmp_ne_u32_e32 vcc_lo, v8, v12
	v_xor_b32_e32 v7, v9, v12
	v_xor_b32_e32 v5, v5, v12
	v_clz_i32_u32_e32 v14, v11
	s_delay_alu instid0(VALU_DEP_1) | instskip(NEXT) | instid1(VALU_DEP_1)
	v_add_nc_u32_e32 v13, 1, v14
	v_cndmask_b32_e32 v8, 33, v13, vcc_lo
	s_delay_alu instid0(VALU_DEP_1) | instskip(NEXT) | instid1(VALU_DEP_1)
	v_sub_nc_u32_e32 v9, 32, v8
	v_alignbit_b32 v11, v11, v7, v9
	v_alignbit_b32 v5, v7, v5, v9
	v_lshrrev_b32_e32 v7, 29, v6
	v_lshrrev_b32_e32 v6, 30, v6
	s_delay_alu instid0(VALU_DEP_3) | instskip(NEXT) | instid1(VALU_DEP_3)
	v_alignbit_b32 v9, v11, v5, 9
	v_lshlrev_b32_e32 v7, 31, v7
	v_alignbit_b32 v11, v8, v11, 9
	s_delay_alu instid0(VALU_DEP_4) | instskip(NEXT) | instid1(VALU_DEP_4)
	v_add_nc_u32_e32 v6, v10, v6
	v_clz_i32_u32_e32 v12, v9
	s_delay_alu instid0(VALU_DEP_3) | instskip(SKIP_1) | instid1(VALU_DEP_3)
	v_or_b32_e32 v11, v11, v7
	v_or_b32_e32 v7, 0x33800000, v7
	v_min_u32_e32 v12, 32, v12
	s_delay_alu instid0(VALU_DEP_3) | instskip(NEXT) | instid1(VALU_DEP_2)
	v_xor_b32_e32 v11, 1.0, v11
	v_sub_nc_u32_e32 v13, 31, v12
	v_add_lshl_u32 v8, v12, v8, 23
	s_delay_alu instid0(VALU_DEP_3) | instskip(NEXT) | instid1(VALU_DEP_3)
	v_mul_f32_e32 v12, 0x3fc90fda, v11
	v_alignbit_b32 v5, v9, v5, v13
	s_delay_alu instid0(VALU_DEP_3) | instskip(NEXT) | instid1(VALU_DEP_3)
	v_sub_nc_u32_e32 v7, v7, v8
	v_fma_f32 v8, 0x3fc90fda, v11, -v12
	s_delay_alu instid0(VALU_DEP_3) | instskip(NEXT) | instid1(VALU_DEP_2)
	v_lshrrev_b32_e32 v5, 9, v5
	v_fmamk_f32 v8, v11, 0x33a22168, v8
	s_delay_alu instid0(VALU_DEP_2) | instskip(NEXT) | instid1(VALU_DEP_1)
	v_or_b32_e32 v5, v7, v5
	v_fmac_f32_e32 v8, 0x3fc90fda, v5
	s_delay_alu instid0(VALU_DEP_1)
	v_add_f32_e32 v5, v12, v8
.LBB32_3:
	s_and_not1_saveexec_b32 s0, s3
; %bb.4:
	v_mul_f32_e32 v5, 0x3f22f983, v2
	s_delay_alu instid0(VALU_DEP_1) | instskip(NEXT) | instid1(VALU_DEP_1)
	v_rndne_f32_e32 v6, v5
	v_fmamk_f32 v5, v6, 0xbfc90fda, v2
	s_delay_alu instid0(VALU_DEP_1) | instskip(NEXT) | instid1(VALU_DEP_1)
	v_fmamk_f32 v5, v6, 0xb3a22168, v5
	v_fmamk_f32 v5, v6, 0xa7c234c4, v5
	v_cvt_i32_f32_e32 v6, v6
; %bb.5:
	s_or_b32 exec_lo, exec_lo, s0
	v_add3_u32 v3, v4, v3, 0x587c5
	s_delay_alu instid0(VALU_DEP_2) | instskip(SKIP_4) | instid1(VALU_DEP_1)
	v_and_b32_e32 v13, 1, v6
	s_mov_b32 s0, 0xb94c1982
	s_mov_b32 s1, 0x37d75334
	v_lshlrev_b64 v[0:1], 1, v[0:1]
	v_cvt_f32_u32_e32 v3, v3
	v_dual_mul_f32 v3, 0x2f800000, v3 :: v_dual_lshlrev_b32 v6, 30, v6
	s_delay_alu instid0(VALU_DEP_1) | instskip(NEXT) | instid1(VALU_DEP_2)
	v_and_b32_e32 v6, 0x80000000, v6
	v_cmp_ngt_f32_e32 vcc_lo, 0x2edbe6ff, v3
	v_cndmask_b32_e32 v3, 0x2edbe6ff, v3, vcc_lo
	s_delay_alu instid0(VALU_DEP_1) | instskip(SKIP_1) | instid1(VALU_DEP_1)
	v_cmp_gt_f32_e32 vcc_lo, 0x800000, v3
	v_cndmask_b32_e64 v4, 1.0, 0x4f800000, vcc_lo
	v_mul_f32_e32 v3, v3, v4
	s_delay_alu instid0(VALU_DEP_1) | instskip(SKIP_2) | instid1(VALU_DEP_1)
	v_log_f32_e32 v3, v3
	s_waitcnt_depctr 0xfff
	v_mul_f32_e32 v4, 0x3f317217, v3
	v_fma_f32 v7, 0x3f317217, v3, -v4
	s_delay_alu instid0(VALU_DEP_1) | instskip(NEXT) | instid1(VALU_DEP_1)
	v_fmamk_f32 v7, v3, 0x3377d1cf, v7
	v_add_f32_e32 v4, v4, v7
	v_cndmask_b32_e64 v7, 0, 0x41b17218, vcc_lo
	v_cmp_gt_f32_e64 vcc_lo, 0x7f800000, |v3|
	s_delay_alu instid0(VALU_DEP_3) | instskip(NEXT) | instid1(VALU_DEP_1)
	v_cndmask_b32_e32 v3, v3, v4, vcc_lo
	v_sub_f32_e32 v3, v3, v7
	v_mul_f32_e32 v7, v5, v5
	s_delay_alu instid0(VALU_DEP_1) | instskip(NEXT) | instid1(VALU_DEP_3)
	v_fmaak_f32 v8, s0, v7, 0x3c0881c4
	v_mul_f32_e32 v3, -2.0, v3
	v_fmaak_f32 v9, s1, v7, 0xbab64f3b
	s_delay_alu instid0(VALU_DEP_3) | instskip(NEXT) | instid1(VALU_DEP_3)
	v_fmaak_f32 v8, v7, v8, 0xbe2aaa9d
	v_cmp_gt_f32_e32 vcc_lo, 0xf800000, v3
	s_delay_alu instid0(VALU_DEP_3) | instskip(NEXT) | instid1(VALU_DEP_3)
	v_fmaak_f32 v9, v7, v9, 0x3d2aabf7
	v_mul_f32_e32 v8, v7, v8
	v_mul_f32_e32 v4, 0x4f800000, v3
	s_delay_alu instid0(VALU_DEP_3) | instskip(NEXT) | instid1(VALU_DEP_3)
	v_fmaak_f32 v9, v7, v9, 0xbf000004
	v_fmac_f32_e32 v5, v5, v8
	s_delay_alu instid0(VALU_DEP_3) | instskip(NEXT) | instid1(VALU_DEP_3)
	v_cndmask_b32_e32 v3, v3, v4, vcc_lo
	v_fma_f32 v7, v7, v9, 1.0
	s_delay_alu instid0(VALU_DEP_2) | instskip(SKIP_3) | instid1(VALU_DEP_2)
	v_sqrt_f32_e32 v4, v3
	s_waitcnt_depctr 0xfff
	v_add_nc_u32_e32 v10, -1, v4
	v_add_nc_u32_e32 v11, 1, v4
	v_fma_f32 v12, -v10, v4, v3
	s_delay_alu instid0(VALU_DEP_2) | instskip(NEXT) | instid1(VALU_DEP_2)
	v_fma_f32 v14, -v11, v4, v3
	v_cmp_ge_f32_e64 s0, 0, v12
	s_delay_alu instid0(VALU_DEP_1) | instskip(NEXT) | instid1(VALU_DEP_3)
	v_cndmask_b32_e64 v4, v4, v10, s0
	v_cmp_lt_f32_e64 s0, 0, v14
	s_delay_alu instid0(VALU_DEP_1) | instskip(SKIP_1) | instid1(VALU_DEP_1)
	v_cndmask_b32_e64 v4, v4, v11, s0
	v_cmp_eq_u32_e64 s0, 0, v13
	v_cndmask_b32_e64 v5, -v5, v7, s0
	s_delay_alu instid0(VALU_DEP_3) | instskip(NEXT) | instid1(VALU_DEP_2)
	v_mul_f32_e32 v7, 0x37800000, v4
	v_xor_b32_e32 v5, v6, v5
	s_delay_alu instid0(VALU_DEP_2) | instskip(SKIP_1) | instid1(VALU_DEP_3)
	v_cndmask_b32_e32 v4, v4, v7, vcc_lo
	v_cmp_lg_f32_e32 vcc_lo, 0x7f800000, v2
	v_cndmask_b32_e32 v2, 0x7fc00000, v5, vcc_lo
	v_cmp_class_f32_e64 vcc_lo, v3, 0x260
	s_delay_alu instid0(VALU_DEP_4) | instskip(SKIP_2) | instid1(VALU_DEP_3)
	v_cndmask_b32_e32 v3, v4, v3, vcc_lo
	v_add_co_u32 v0, vcc_lo, s4, v0
	v_add_co_ci_u32_e32 v1, vcc_lo, s5, v1, vcc_lo
	v_fma_mixlo_f16 v2, v3, v2, 0
	global_store_b16 v[0:1], v2, off
.LBB32_6:
	s_nop 0
	s_sendmsg sendmsg(MSG_DEALLOC_VGPRS)
	s_endpgm
	.section	.rodata,"a",@progbits
	.p2align	6, 0x0
	.amdhsa_kernel _Z11fill_kernelIDF16_Z21hipblaslt_init_deviceIDF16_Ev8ABC_dims24hipblaslt_initializationbPT_mmmmmEUlmE9_EvS4_mmT0_
		.amdhsa_group_segment_fixed_size 0
		.amdhsa_private_segment_fixed_size 0
		.amdhsa_kernarg_size 288
		.amdhsa_user_sgpr_count 15
		.amdhsa_user_sgpr_dispatch_ptr 0
		.amdhsa_user_sgpr_queue_ptr 0
		.amdhsa_user_sgpr_kernarg_segment_ptr 1
		.amdhsa_user_sgpr_dispatch_id 0
		.amdhsa_user_sgpr_private_segment_size 0
		.amdhsa_wavefront_size32 1
		.amdhsa_uses_dynamic_stack 0
		.amdhsa_enable_private_segment 0
		.amdhsa_system_sgpr_workgroup_id_x 1
		.amdhsa_system_sgpr_workgroup_id_y 0
		.amdhsa_system_sgpr_workgroup_id_z 0
		.amdhsa_system_sgpr_workgroup_info 0
		.amdhsa_system_vgpr_workitem_id 0
		.amdhsa_next_free_vgpr 17
		.amdhsa_next_free_sgpr 16
		.amdhsa_reserve_vcc 1
		.amdhsa_float_round_mode_32 0
		.amdhsa_float_round_mode_16_64 0
		.amdhsa_float_denorm_mode_32 3
		.amdhsa_float_denorm_mode_16_64 3
		.amdhsa_dx10_clamp 1
		.amdhsa_ieee_mode 1
		.amdhsa_fp16_overflow 0
		.amdhsa_workgroup_processor_mode 1
		.amdhsa_memory_ordered 1
		.amdhsa_forward_progress 0
		.amdhsa_shared_vgpr_count 0
		.amdhsa_exception_fp_ieee_invalid_op 0
		.amdhsa_exception_fp_denorm_src 0
		.amdhsa_exception_fp_ieee_div_zero 0
		.amdhsa_exception_fp_ieee_overflow 0
		.amdhsa_exception_fp_ieee_underflow 0
		.amdhsa_exception_fp_ieee_inexact 0
		.amdhsa_exception_int_div_zero 0
	.end_amdhsa_kernel
	.section	.text._Z11fill_kernelIDF16_Z21hipblaslt_init_deviceIDF16_Ev8ABC_dims24hipblaslt_initializationbPT_mmmmmEUlmE9_EvS4_mmT0_,"axG",@progbits,_Z11fill_kernelIDF16_Z21hipblaslt_init_deviceIDF16_Ev8ABC_dims24hipblaslt_initializationbPT_mmmmmEUlmE9_EvS4_mmT0_,comdat
.Lfunc_end32:
	.size	_Z11fill_kernelIDF16_Z21hipblaslt_init_deviceIDF16_Ev8ABC_dims24hipblaslt_initializationbPT_mmmmmEUlmE9_EvS4_mmT0_, .Lfunc_end32-_Z11fill_kernelIDF16_Z21hipblaslt_init_deviceIDF16_Ev8ABC_dims24hipblaslt_initializationbPT_mmmmmEUlmE9_EvS4_mmT0_
                                        ; -- End function
	.section	.AMDGPU.csdata,"",@progbits
; Kernel info:
; codeLenInByte = 1580
; NumSgprs: 18
; NumVgprs: 17
; ScratchSize: 0
; MemoryBound: 0
; FloatMode: 240
; IeeeMode: 1
; LDSByteSize: 0 bytes/workgroup (compile time only)
; SGPRBlocks: 2
; VGPRBlocks: 2
; NumSGPRsForWavesPerEU: 18
; NumVGPRsForWavesPerEU: 17
; Occupancy: 16
; WaveLimiterHint : 0
; COMPUTE_PGM_RSRC2:SCRATCH_EN: 0
; COMPUTE_PGM_RSRC2:USER_SGPR: 15
; COMPUTE_PGM_RSRC2:TRAP_HANDLER: 0
; COMPUTE_PGM_RSRC2:TGID_X_EN: 1
; COMPUTE_PGM_RSRC2:TGID_Y_EN: 0
; COMPUTE_PGM_RSRC2:TGID_Z_EN: 0
; COMPUTE_PGM_RSRC2:TIDIG_COMP_CNT: 0
	.section	.text._Z11fill_kernelI12hip_bfloat16Z21hipblaslt_init_deviceIS0_Ev8ABC_dims24hipblaslt_initializationbPT_mmmmmEUlmE_EvS5_mmT0_,"axG",@progbits,_Z11fill_kernelI12hip_bfloat16Z21hipblaslt_init_deviceIS0_Ev8ABC_dims24hipblaslt_initializationbPT_mmmmmEUlmE_EvS5_mmT0_,comdat
	.protected	_Z11fill_kernelI12hip_bfloat16Z21hipblaslt_init_deviceIS0_Ev8ABC_dims24hipblaslt_initializationbPT_mmmmmEUlmE_EvS5_mmT0_ ; -- Begin function _Z11fill_kernelI12hip_bfloat16Z21hipblaslt_init_deviceIS0_Ev8ABC_dims24hipblaslt_initializationbPT_mmmmmEUlmE_EvS5_mmT0_
	.globl	_Z11fill_kernelI12hip_bfloat16Z21hipblaslt_init_deviceIS0_Ev8ABC_dims24hipblaslt_initializationbPT_mmmmmEUlmE_EvS5_mmT0_
	.p2align	8
	.type	_Z11fill_kernelI12hip_bfloat16Z21hipblaslt_init_deviceIS0_Ev8ABC_dims24hipblaslt_initializationbPT_mmmmmEUlmE_EvS5_mmT0_,@function
_Z11fill_kernelI12hip_bfloat16Z21hipblaslt_init_deviceIS0_Ev8ABC_dims24hipblaslt_initializationbPT_mmmmmEUlmE_EvS5_mmT0_: ; @_Z11fill_kernelI12hip_bfloat16Z21hipblaslt_init_deviceIS0_Ev8ABC_dims24hipblaslt_initializationbPT_mmmmmEUlmE_EvS5_mmT0_
; %bb.0:
	s_clause 0x1
	s_load_b32 s2, s[0:1], 0xec
	s_load_b128 s[4:7], s[0:1], 0x0
	s_waitcnt lgkmcnt(0)
	s_and_b32 s2, s2, 0xffff
	s_delay_alu instid0(SALU_CYCLE_1) | instskip(SKIP_2) | instid1(VALU_DEP_1)
	v_mad_u64_u32 v[1:2], null, s15, s2, v[0:1]
	v_mov_b32_e32 v2, 0
	s_mov_b32 s2, exec_lo
	v_cmpx_gt_u64_e64 s[6:7], v[1:2]
	s_cbranch_execz .LBB33_2
; %bb.1:
	s_load_b64 s[2:3], s[0:1], 0x10
	s_mov_b32 s6, 0x19660d
	s_waitcnt lgkmcnt(0)
	v_add_co_u32 v0, s2, v1, s2
	s_delay_alu instid0(VALU_DEP_1) | instskip(NEXT) | instid1(VALU_DEP_2)
	v_add_co_ci_u32_e64 v1, null, 0, s3, s2
	v_mad_u64_u32 v[2:3], null, v0, s6, 0x3c6ef35f
	s_delay_alu instid0(VALU_DEP_1) | instskip(SKIP_1) | instid1(VALU_DEP_1)
	v_mad_u64_u32 v[4:5], null, 0x19660d, v1, v[3:4]
	v_lshlrev_b64 v[0:1], 1, v[0:1]
	v_add_co_u32 v0, vcc_lo, s4, v0
	s_delay_alu instid0(VALU_DEP_3) | instskip(NEXT) | instid1(VALU_DEP_3)
	v_mov_b32_e32 v3, v4
	v_add_co_ci_u32_e32 v1, vcc_lo, s5, v1, vcc_lo
	s_delay_alu instid0(VALU_DEP_2) | instskip(NEXT) | instid1(VALU_DEP_1)
	v_lshlrev_b64 v[4:5], 13, v[2:3]
	v_xor_b32_e32 v3, v5, v3
	s_delay_alu instid0(VALU_DEP_2) | instskip(NEXT) | instid1(VALU_DEP_1)
	v_xor_b32_e32 v2, v4, v2
	v_lshrrev_b64 v[4:5], 17, v[2:3]
	s_delay_alu instid0(VALU_DEP_1) | instskip(NEXT) | instid1(VALU_DEP_2)
	v_xor_b32_e32 v3, v5, v3
	v_xor_b32_e32 v2, v4, v2
	s_delay_alu instid0(VALU_DEP_1) | instskip(NEXT) | instid1(VALU_DEP_1)
	v_lshlrev_b64 v[4:5], 5, v[2:3]
	v_xor_b32_e32 v3, v5, v3
	s_delay_alu instid0(VALU_DEP_2) | instskip(NEXT) | instid1(VALU_DEP_1)
	v_xor_b32_e32 v2, v4, v2
	v_lshlrev_b64 v[4:5], 13, v[2:3]
	s_delay_alu instid0(VALU_DEP_1) | instskip(NEXT) | instid1(VALU_DEP_2)
	v_xor_b32_e32 v3, v5, v3
	v_xor_b32_e32 v2, v4, v2
	s_delay_alu instid0(VALU_DEP_1) | instskip(NEXT) | instid1(VALU_DEP_1)
	v_lshrrev_b64 v[4:5], 17, v[2:3]
	v_xor_b32_e32 v3, v5, v3
	s_delay_alu instid0(VALU_DEP_2) | instskip(NEXT) | instid1(VALU_DEP_1)
	v_xor_b32_e32 v2, v4, v2
	v_lshlrev_b64 v[4:5], 5, v[2:3]
	s_delay_alu instid0(VALU_DEP_1) | instskip(NEXT) | instid1(VALU_DEP_2)
	v_xor_b32_e32 v3, v5, v3
	v_xor_b32_e32 v2, v4, v2
	s_delay_alu instid0(VALU_DEP_1) | instskip(NEXT) | instid1(VALU_DEP_1)
	v_lshlrev_b64 v[4:5], 13, v[2:3]
	v_xor_b32_e32 v3, v5, v3
	s_delay_alu instid0(VALU_DEP_2) | instskip(NEXT) | instid1(VALU_DEP_1)
	v_xor_b32_e32 v2, v4, v2
	v_alignbit_b32 v3, v3, v2, 17
	s_delay_alu instid0(VALU_DEP_1) | instskip(NEXT) | instid1(VALU_DEP_1)
	v_xor_b32_e32 v2, v3, v2
	v_lshlrev_b32_e32 v3, 5, v2
	s_delay_alu instid0(VALU_DEP_1) | instskip(NEXT) | instid1(VALU_DEP_1)
	v_xor_b32_e32 v2, v3, v2
	v_mul_hi_u32 v3, 0x51eb851f, v2
	s_delay_alu instid0(VALU_DEP_1) | instskip(NEXT) | instid1(VALU_DEP_1)
	v_lshrrev_b32_e32 v3, 5, v3
	v_mul_lo_u32 v3, 0x64, v3
	s_delay_alu instid0(VALU_DEP_1) | instskip(NEXT) | instid1(VALU_DEP_1)
	v_sub_nc_u32_e32 v2, v2, v3
	v_lshlrev_b32_e32 v2, 1, v2
	global_load_u16 v2, v2, s[0:1] offset:24
	s_waitcnt vmcnt(0)
	global_store_b16 v[0:1], v2, off
.LBB33_2:
	s_nop 0
	s_sendmsg sendmsg(MSG_DEALLOC_VGPRS)
	s_endpgm
	.section	.rodata,"a",@progbits
	.p2align	6, 0x0
	.amdhsa_kernel _Z11fill_kernelI12hip_bfloat16Z21hipblaslt_init_deviceIS0_Ev8ABC_dims24hipblaslt_initializationbPT_mmmmmEUlmE_EvS5_mmT0_
		.amdhsa_group_segment_fixed_size 0
		.amdhsa_private_segment_fixed_size 0
		.amdhsa_kernarg_size 480
		.amdhsa_user_sgpr_count 15
		.amdhsa_user_sgpr_dispatch_ptr 0
		.amdhsa_user_sgpr_queue_ptr 0
		.amdhsa_user_sgpr_kernarg_segment_ptr 1
		.amdhsa_user_sgpr_dispatch_id 0
		.amdhsa_user_sgpr_private_segment_size 0
		.amdhsa_wavefront_size32 1
		.amdhsa_uses_dynamic_stack 0
		.amdhsa_enable_private_segment 0
		.amdhsa_system_sgpr_workgroup_id_x 1
		.amdhsa_system_sgpr_workgroup_id_y 0
		.amdhsa_system_sgpr_workgroup_id_z 0
		.amdhsa_system_sgpr_workgroup_info 0
		.amdhsa_system_vgpr_workitem_id 0
		.amdhsa_next_free_vgpr 6
		.amdhsa_next_free_sgpr 16
		.amdhsa_reserve_vcc 1
		.amdhsa_float_round_mode_32 0
		.amdhsa_float_round_mode_16_64 0
		.amdhsa_float_denorm_mode_32 3
		.amdhsa_float_denorm_mode_16_64 3
		.amdhsa_dx10_clamp 1
		.amdhsa_ieee_mode 1
		.amdhsa_fp16_overflow 0
		.amdhsa_workgroup_processor_mode 1
		.amdhsa_memory_ordered 1
		.amdhsa_forward_progress 0
		.amdhsa_shared_vgpr_count 0
		.amdhsa_exception_fp_ieee_invalid_op 0
		.amdhsa_exception_fp_denorm_src 0
		.amdhsa_exception_fp_ieee_div_zero 0
		.amdhsa_exception_fp_ieee_overflow 0
		.amdhsa_exception_fp_ieee_underflow 0
		.amdhsa_exception_fp_ieee_inexact 0
		.amdhsa_exception_int_div_zero 0
	.end_amdhsa_kernel
	.section	.text._Z11fill_kernelI12hip_bfloat16Z21hipblaslt_init_deviceIS0_Ev8ABC_dims24hipblaslt_initializationbPT_mmmmmEUlmE_EvS5_mmT0_,"axG",@progbits,_Z11fill_kernelI12hip_bfloat16Z21hipblaslt_init_deviceIS0_Ev8ABC_dims24hipblaslt_initializationbPT_mmmmmEUlmE_EvS5_mmT0_,comdat
.Lfunc_end33:
	.size	_Z11fill_kernelI12hip_bfloat16Z21hipblaslt_init_deviceIS0_Ev8ABC_dims24hipblaslt_initializationbPT_mmmmmEUlmE_EvS5_mmT0_, .Lfunc_end33-_Z11fill_kernelI12hip_bfloat16Z21hipblaslt_init_deviceIS0_Ev8ABC_dims24hipblaslt_initializationbPT_mmmmmEUlmE_EvS5_mmT0_
                                        ; -- End function
	.section	.AMDGPU.csdata,"",@progbits
; Kernel info:
; codeLenInByte = 420
; NumSgprs: 18
; NumVgprs: 6
; ScratchSize: 0
; MemoryBound: 0
; FloatMode: 240
; IeeeMode: 1
; LDSByteSize: 0 bytes/workgroup (compile time only)
; SGPRBlocks: 2
; VGPRBlocks: 0
; NumSGPRsForWavesPerEU: 18
; NumVGPRsForWavesPerEU: 6
; Occupancy: 16
; WaveLimiterHint : 0
; COMPUTE_PGM_RSRC2:SCRATCH_EN: 0
; COMPUTE_PGM_RSRC2:USER_SGPR: 15
; COMPUTE_PGM_RSRC2:TRAP_HANDLER: 0
; COMPUTE_PGM_RSRC2:TGID_X_EN: 1
; COMPUTE_PGM_RSRC2:TGID_Y_EN: 0
; COMPUTE_PGM_RSRC2:TGID_Z_EN: 0
; COMPUTE_PGM_RSRC2:TIDIG_COMP_CNT: 0
	.section	.text._Z11fill_kernelI12hip_bfloat16Z21hipblaslt_init_deviceIS0_Ev8ABC_dims24hipblaslt_initializationbPT_mmmmmEUlmE0_EvS5_mmT0_,"axG",@progbits,_Z11fill_kernelI12hip_bfloat16Z21hipblaslt_init_deviceIS0_Ev8ABC_dims24hipblaslt_initializationbPT_mmmmmEUlmE0_EvS5_mmT0_,comdat
	.protected	_Z11fill_kernelI12hip_bfloat16Z21hipblaslt_init_deviceIS0_Ev8ABC_dims24hipblaslt_initializationbPT_mmmmmEUlmE0_EvS5_mmT0_ ; -- Begin function _Z11fill_kernelI12hip_bfloat16Z21hipblaslt_init_deviceIS0_Ev8ABC_dims24hipblaslt_initializationbPT_mmmmmEUlmE0_EvS5_mmT0_
	.globl	_Z11fill_kernelI12hip_bfloat16Z21hipblaslt_init_deviceIS0_Ev8ABC_dims24hipblaslt_initializationbPT_mmmmmEUlmE0_EvS5_mmT0_
	.p2align	8
	.type	_Z11fill_kernelI12hip_bfloat16Z21hipblaslt_init_deviceIS0_Ev8ABC_dims24hipblaslt_initializationbPT_mmmmmEUlmE0_EvS5_mmT0_,@function
_Z11fill_kernelI12hip_bfloat16Z21hipblaslt_init_deviceIS0_Ev8ABC_dims24hipblaslt_initializationbPT_mmmmmEUlmE0_EvS5_mmT0_: ; @_Z11fill_kernelI12hip_bfloat16Z21hipblaslt_init_deviceIS0_Ev8ABC_dims24hipblaslt_initializationbPT_mmmmmEUlmE0_EvS5_mmT0_
; %bb.0:
	s_clause 0x1
	s_load_b32 s2, s[0:1], 0x2c
	s_load_b128 s[4:7], s[0:1], 0x0
	s_waitcnt lgkmcnt(0)
	s_and_b32 s2, s2, 0xffff
	s_delay_alu instid0(SALU_CYCLE_1) | instskip(SKIP_2) | instid1(VALU_DEP_1)
	v_mad_u64_u32 v[1:2], null, s15, s2, v[0:1]
	v_mov_b32_e32 v2, 0
	s_mov_b32 s2, exec_lo
	v_cmpx_gt_u64_e64 s[6:7], v[1:2]
	s_cbranch_execz .LBB34_6
; %bb.1:
	s_load_b64 s[0:1], s[0:1], 0x10
	s_mov_b32 s2, 0x19660d
	s_waitcnt lgkmcnt(0)
	v_add_co_u32 v0, s0, v1, s0
	s_delay_alu instid0(VALU_DEP_1) | instskip(NEXT) | instid1(VALU_DEP_2)
	v_add_co_ci_u32_e64 v1, null, 0, s1, s0
	v_mad_u64_u32 v[2:3], null, v0, s2, 0x3c6ef35f
	s_delay_alu instid0(VALU_DEP_1) | instskip(NEXT) | instid1(VALU_DEP_1)
	v_mad_u64_u32 v[4:5], null, 0x19660d, v1, v[3:4]
	v_mov_b32_e32 v3, v4
	s_delay_alu instid0(VALU_DEP_1) | instskip(NEXT) | instid1(VALU_DEP_1)
	v_lshlrev_b64 v[4:5], 13, v[2:3]
	v_xor_b32_e32 v3, v5, v3
	s_delay_alu instid0(VALU_DEP_2) | instskip(NEXT) | instid1(VALU_DEP_1)
	v_xor_b32_e32 v2, v4, v2
	v_lshrrev_b64 v[4:5], 17, v[2:3]
	s_delay_alu instid0(VALU_DEP_1) | instskip(NEXT) | instid1(VALU_DEP_2)
	v_xor_b32_e32 v3, v5, v3
	v_xor_b32_e32 v2, v4, v2
	s_delay_alu instid0(VALU_DEP_1) | instskip(NEXT) | instid1(VALU_DEP_1)
	v_lshlrev_b64 v[4:5], 5, v[2:3]
	v_xor_b32_e32 v3, v5, v3
	s_delay_alu instid0(VALU_DEP_2) | instskip(NEXT) | instid1(VALU_DEP_1)
	v_xor_b32_e32 v2, v4, v2
	v_lshlrev_b64 v[4:5], 13, v[2:3]
	s_delay_alu instid0(VALU_DEP_1) | instskip(NEXT) | instid1(VALU_DEP_2)
	v_xor_b32_e32 v3, v5, v3
	v_xor_b32_e32 v2, v4, v2
	s_delay_alu instid0(VALU_DEP_1) | instskip(NEXT) | instid1(VALU_DEP_1)
	v_lshrrev_b64 v[4:5], 17, v[2:3]
	v_xor_b32_e32 v3, v5, v3
	s_delay_alu instid0(VALU_DEP_2) | instskip(NEXT) | instid1(VALU_DEP_1)
	v_xor_b32_e32 v2, v4, v2
	v_lshlrev_b64 v[4:5], 5, v[2:3]
	s_delay_alu instid0(VALU_DEP_1) | instskip(NEXT) | instid1(VALU_DEP_2)
	v_xor_b32_e32 v3, v5, v3
	v_xor_b32_e32 v2, v4, v2
	s_delay_alu instid0(VALU_DEP_1) | instskip(NEXT) | instid1(VALU_DEP_1)
	v_lshlrev_b64 v[4:5], 13, v[2:3]
	v_xor_b32_e32 v3, v5, v3
	s_delay_alu instid0(VALU_DEP_2) | instskip(NEXT) | instid1(VALU_DEP_1)
	v_xor_b32_e32 v2, v4, v2
	v_alignbit_b32 v3, v3, v2, 17
	s_delay_alu instid0(VALU_DEP_1) | instskip(NEXT) | instid1(VALU_DEP_1)
	v_xor_b32_e32 v2, v3, v2
	v_lshlrev_b32_e32 v3, 5, v2
	s_delay_alu instid0(VALU_DEP_1) | instskip(NEXT) | instid1(VALU_DEP_1)
	v_xor_b32_e32 v2, v3, v2
	v_mul_hi_u32 v3, 0xcccccccd, v2
	s_delay_alu instid0(VALU_DEP_1) | instskip(NEXT) | instid1(VALU_DEP_1)
	v_lshrrev_b32_e32 v3, 2, v3
	v_lshl_add_u32 v3, v3, 2, v3
	s_delay_alu instid0(VALU_DEP_1) | instskip(NEXT) | instid1(VALU_DEP_1)
	v_sub_nc_u32_e32 v2, v2, v3
	v_add_nc_u32_e32 v2, -2, v2
	s_delay_alu instid0(VALU_DEP_1) | instskip(NEXT) | instid1(VALU_DEP_1)
	v_cvt_f32_i32_e32 v3, v2
	v_and_b32_e32 v2, 0x7f800000, v3
	s_delay_alu instid0(VALU_DEP_1) | instskip(SKIP_1) | instid1(SALU_CYCLE_1)
	v_cmp_ne_u32_e32 vcc_lo, 0x7f800000, v2
                                        ; implicit-def: $vgpr2
	s_and_saveexec_b32 s0, vcc_lo
	s_xor_b32 s0, exec_lo, s0
; %bb.2:
	v_bfe_u32 v2, v3, 16, 1
	s_delay_alu instid0(VALU_DEP_1)
	v_add3_u32 v2, v3, v2, 0x7fff
                                        ; implicit-def: $vgpr3
; %bb.3:
	s_and_not1_saveexec_b32 s0, s0
; %bb.4:
	v_and_b32_e32 v2, 0xffff, v3
	v_or_b32_e32 v4, 0x10000, v3
	s_delay_alu instid0(VALU_DEP_2) | instskip(NEXT) | instid1(VALU_DEP_2)
	v_cmp_eq_u32_e32 vcc_lo, 0, v2
	v_cndmask_b32_e32 v2, v4, v3, vcc_lo
; %bb.5:
	s_or_b32 exec_lo, exec_lo, s0
	v_lshlrev_b64 v[0:1], 1, v[0:1]
	s_delay_alu instid0(VALU_DEP_1) | instskip(NEXT) | instid1(VALU_DEP_2)
	v_add_co_u32 v0, vcc_lo, s4, v0
	v_add_co_ci_u32_e32 v1, vcc_lo, s5, v1, vcc_lo
	global_store_d16_hi_b16 v[0:1], v2, off
.LBB34_6:
	s_nop 0
	s_sendmsg sendmsg(MSG_DEALLOC_VGPRS)
	s_endpgm
	.section	.rodata,"a",@progbits
	.p2align	6, 0x0
	.amdhsa_kernel _Z11fill_kernelI12hip_bfloat16Z21hipblaslt_init_deviceIS0_Ev8ABC_dims24hipblaslt_initializationbPT_mmmmmEUlmE0_EvS5_mmT0_
		.amdhsa_group_segment_fixed_size 0
		.amdhsa_private_segment_fixed_size 0
		.amdhsa_kernarg_size 288
		.amdhsa_user_sgpr_count 15
		.amdhsa_user_sgpr_dispatch_ptr 0
		.amdhsa_user_sgpr_queue_ptr 0
		.amdhsa_user_sgpr_kernarg_segment_ptr 1
		.amdhsa_user_sgpr_dispatch_id 0
		.amdhsa_user_sgpr_private_segment_size 0
		.amdhsa_wavefront_size32 1
		.amdhsa_uses_dynamic_stack 0
		.amdhsa_enable_private_segment 0
		.amdhsa_system_sgpr_workgroup_id_x 1
		.amdhsa_system_sgpr_workgroup_id_y 0
		.amdhsa_system_sgpr_workgroup_id_z 0
		.amdhsa_system_sgpr_workgroup_info 0
		.amdhsa_system_vgpr_workitem_id 0
		.amdhsa_next_free_vgpr 6
		.amdhsa_next_free_sgpr 16
		.amdhsa_reserve_vcc 1
		.amdhsa_float_round_mode_32 0
		.amdhsa_float_round_mode_16_64 0
		.amdhsa_float_denorm_mode_32 3
		.amdhsa_float_denorm_mode_16_64 3
		.amdhsa_dx10_clamp 1
		.amdhsa_ieee_mode 1
		.amdhsa_fp16_overflow 0
		.amdhsa_workgroup_processor_mode 1
		.amdhsa_memory_ordered 1
		.amdhsa_forward_progress 0
		.amdhsa_shared_vgpr_count 0
		.amdhsa_exception_fp_ieee_invalid_op 0
		.amdhsa_exception_fp_denorm_src 0
		.amdhsa_exception_fp_ieee_div_zero 0
		.amdhsa_exception_fp_ieee_overflow 0
		.amdhsa_exception_fp_ieee_underflow 0
		.amdhsa_exception_fp_ieee_inexact 0
		.amdhsa_exception_int_div_zero 0
	.end_amdhsa_kernel
	.section	.text._Z11fill_kernelI12hip_bfloat16Z21hipblaslt_init_deviceIS0_Ev8ABC_dims24hipblaslt_initializationbPT_mmmmmEUlmE0_EvS5_mmT0_,"axG",@progbits,_Z11fill_kernelI12hip_bfloat16Z21hipblaslt_init_deviceIS0_Ev8ABC_dims24hipblaslt_initializationbPT_mmmmmEUlmE0_EvS5_mmT0_,comdat
.Lfunc_end34:
	.size	_Z11fill_kernelI12hip_bfloat16Z21hipblaslt_init_deviceIS0_Ev8ABC_dims24hipblaslt_initializationbPT_mmmmmEUlmE0_EvS5_mmT0_, .Lfunc_end34-_Z11fill_kernelI12hip_bfloat16Z21hipblaslt_init_deviceIS0_Ev8ABC_dims24hipblaslt_initializationbPT_mmmmmEUlmE0_EvS5_mmT0_
                                        ; -- End function
	.section	.AMDGPU.csdata,"",@progbits
; Kernel info:
; codeLenInByte = 500
; NumSgprs: 18
; NumVgprs: 6
; ScratchSize: 0
; MemoryBound: 0
; FloatMode: 240
; IeeeMode: 1
; LDSByteSize: 0 bytes/workgroup (compile time only)
; SGPRBlocks: 2
; VGPRBlocks: 0
; NumSGPRsForWavesPerEU: 18
; NumVGPRsForWavesPerEU: 6
; Occupancy: 16
; WaveLimiterHint : 0
; COMPUTE_PGM_RSRC2:SCRATCH_EN: 0
; COMPUTE_PGM_RSRC2:USER_SGPR: 15
; COMPUTE_PGM_RSRC2:TRAP_HANDLER: 0
; COMPUTE_PGM_RSRC2:TGID_X_EN: 1
; COMPUTE_PGM_RSRC2:TGID_Y_EN: 0
; COMPUTE_PGM_RSRC2:TGID_Z_EN: 0
; COMPUTE_PGM_RSRC2:TIDIG_COMP_CNT: 0
	.section	.text._Z11fill_kernelI12hip_bfloat16Z21hipblaslt_init_deviceIS0_Ev8ABC_dims24hipblaslt_initializationbPT_mmmmmEUlmE1_EvS5_mmT0_,"axG",@progbits,_Z11fill_kernelI12hip_bfloat16Z21hipblaslt_init_deviceIS0_Ev8ABC_dims24hipblaslt_initializationbPT_mmmmmEUlmE1_EvS5_mmT0_,comdat
	.protected	_Z11fill_kernelI12hip_bfloat16Z21hipblaslt_init_deviceIS0_Ev8ABC_dims24hipblaslt_initializationbPT_mmmmmEUlmE1_EvS5_mmT0_ ; -- Begin function _Z11fill_kernelI12hip_bfloat16Z21hipblaslt_init_deviceIS0_Ev8ABC_dims24hipblaslt_initializationbPT_mmmmmEUlmE1_EvS5_mmT0_
	.globl	_Z11fill_kernelI12hip_bfloat16Z21hipblaslt_init_deviceIS0_Ev8ABC_dims24hipblaslt_initializationbPT_mmmmmEUlmE1_EvS5_mmT0_
	.p2align	8
	.type	_Z11fill_kernelI12hip_bfloat16Z21hipblaslt_init_deviceIS0_Ev8ABC_dims24hipblaslt_initializationbPT_mmmmmEUlmE1_EvS5_mmT0_,@function
_Z11fill_kernelI12hip_bfloat16Z21hipblaslt_init_deviceIS0_Ev8ABC_dims24hipblaslt_initializationbPT_mmmmmEUlmE1_EvS5_mmT0_: ; @_Z11fill_kernelI12hip_bfloat16Z21hipblaslt_init_deviceIS0_Ev8ABC_dims24hipblaslt_initializationbPT_mmmmmEUlmE1_EvS5_mmT0_
; %bb.0:
	s_clause 0x1
	s_load_b32 s2, s[0:1], 0x34
	s_load_b256 s[4:11], s[0:1], 0x0
	s_waitcnt lgkmcnt(0)
	s_and_b32 s2, s2, 0xffff
	s_delay_alu instid0(SALU_CYCLE_1) | instskip(SKIP_2) | instid1(VALU_DEP_1)
	v_mad_u64_u32 v[1:2], null, s15, s2, v[0:1]
	v_mov_b32_e32 v2, 0
	s_mov_b32 s2, exec_lo
	v_cmpx_gt_u64_e64 s[6:7], v[1:2]
	s_cbranch_execz .LBB35_14
; %bb.1:
	v_add_co_u32 v0, s2, v1, s8
	s_delay_alu instid0(VALU_DEP_1)
	v_add_co_ci_u32_e64 v1, null, 0, s9, s2
	s_mov_b32 s2, 0x19660d
                                        ; implicit-def: $vgpr6
	s_delay_alu instid0(VALU_DEP_2) | instid1(SALU_CYCLE_1)
	v_mad_u64_u32 v[2:3], null, v0, s2, 0x3c6ef35f
	s_load_b64 s[2:3], s[0:1], 0x20
	s_mov_b32 s0, exec_lo
	s_delay_alu instid0(VALU_DEP_1) | instskip(NEXT) | instid1(VALU_DEP_1)
	v_mad_u64_u32 v[4:5], null, 0x19660d, v1, v[3:4]
	v_mov_b32_e32 v3, v4
	s_delay_alu instid0(VALU_DEP_1) | instskip(NEXT) | instid1(VALU_DEP_1)
	v_lshlrev_b64 v[4:5], 13, v[2:3]
	v_xor_b32_e32 v3, v5, v3
	s_delay_alu instid0(VALU_DEP_2) | instskip(NEXT) | instid1(VALU_DEP_1)
	v_xor_b32_e32 v2, v4, v2
	v_lshrrev_b64 v[4:5], 17, v[2:3]
	s_delay_alu instid0(VALU_DEP_1) | instskip(NEXT) | instid1(VALU_DEP_2)
	v_xor_b32_e32 v3, v5, v3
	v_xor_b32_e32 v2, v4, v2
	s_delay_alu instid0(VALU_DEP_1) | instskip(NEXT) | instid1(VALU_DEP_1)
	v_lshlrev_b64 v[4:5], 5, v[2:3]
	v_xor_b32_e32 v3, v5, v3
	s_delay_alu instid0(VALU_DEP_2) | instskip(NEXT) | instid1(VALU_DEP_1)
	v_xor_b32_e32 v2, v4, v2
	v_lshlrev_b64 v[4:5], 13, v[2:3]
	s_delay_alu instid0(VALU_DEP_1) | instskip(NEXT) | instid1(VALU_DEP_2)
	v_xor_b32_e32 v3, v5, v3
	v_xor_b32_e32 v2, v4, v2
	s_delay_alu instid0(VALU_DEP_1) | instskip(NEXT) | instid1(VALU_DEP_1)
	v_lshrrev_b64 v[4:5], 17, v[2:3]
	v_xor_b32_e32 v3, v5, v3
	s_delay_alu instid0(VALU_DEP_2) | instskip(NEXT) | instid1(VALU_DEP_1)
	v_xor_b32_e32 v2, v4, v2
	v_lshlrev_b64 v[4:5], 5, v[2:3]
	s_delay_alu instid0(VALU_DEP_1) | instskip(NEXT) | instid1(VALU_DEP_2)
	v_xor_b32_e32 v3, v5, v3
	v_xor_b32_e32 v2, v4, v2
	s_delay_alu instid0(VALU_DEP_1) | instskip(NEXT) | instid1(VALU_DEP_1)
	v_lshlrev_b64 v[4:5], 13, v[2:3]
	v_xor_b32_e32 v3, v5, v3
	s_delay_alu instid0(VALU_DEP_2) | instskip(NEXT) | instid1(VALU_DEP_1)
	v_xor_b32_e32 v2, v4, v2
	v_alignbit_b32 v3, v3, v2, 17
	s_delay_alu instid0(VALU_DEP_1) | instskip(NEXT) | instid1(VALU_DEP_1)
	v_xor_b32_e32 v2, v3, v2
	v_lshlrev_b32_e32 v3, 5, v2
	s_delay_alu instid0(VALU_DEP_1) | instskip(NEXT) | instid1(VALU_DEP_1)
	v_xor_b32_e32 v2, v3, v2
	v_mul_hi_u32 v3, 0xcccccccd, v2
	s_delay_alu instid0(VALU_DEP_1) | instskip(NEXT) | instid1(VALU_DEP_1)
	v_lshrrev_b32_e32 v3, 2, v3
	v_lshl_add_u32 v3, v3, 2, v3
	s_delay_alu instid0(VALU_DEP_1) | instskip(NEXT) | instid1(VALU_DEP_1)
	v_sub_nc_u32_e32 v2, v2, v3
	v_add_nc_u32_e32 v2, -2, v2
	s_delay_alu instid0(VALU_DEP_1) | instskip(NEXT) | instid1(VALU_DEP_1)
	v_cvt_f32_i32_e32 v2, v2
	v_and_b32_e32 v3, 0x7f800000, v2
	s_delay_alu instid0(VALU_DEP_1)
	v_cmpx_ne_u32_e32 0x7f800000, v3
	s_xor_b32 s0, exec_lo, s0
; %bb.2:
	v_bfe_u32 v3, v2, 16, 1
	s_delay_alu instid0(VALU_DEP_1)
	v_add3_u32 v6, v2, v3, 0x7fff
                                        ; implicit-def: $vgpr2
; %bb.3:
	s_and_not1_saveexec_b32 s0, s0
; %bb.4:
	v_and_b32_e32 v3, 0xffff, v2
	v_or_b32_e32 v4, 0x10000, v2
	s_delay_alu instid0(VALU_DEP_2) | instskip(NEXT) | instid1(VALU_DEP_2)
	v_cmp_eq_u32_e32 vcc_lo, 0, v3
	v_cndmask_b32_e32 v6, v4, v2, vcc_lo
; %bb.5:
	s_or_b32 exec_lo, exec_lo, s0
	v_or_b32_e32 v3, s11, v1
	v_mov_b32_e32 v2, 0
	s_delay_alu instid0(VALU_DEP_1) | instskip(SKIP_1) | instid1(SALU_CYCLE_1)
	v_cmp_ne_u64_e32 vcc_lo, 0, v[2:3]
                                        ; implicit-def: $vgpr2_vgpr3
	s_and_saveexec_b32 s0, vcc_lo
	s_xor_b32 s1, exec_lo, s0
	s_cbranch_execz .LBB35_7
; %bb.6:
	v_cvt_f32_u32_e32 v2, s10
	v_cvt_f32_u32_e32 v3, s11
	s_sub_u32 s0, 0, s10
	s_subb_u32 s6, 0, s11
	s_delay_alu instid0(VALU_DEP_1) | instskip(NEXT) | instid1(VALU_DEP_1)
	v_fmamk_f32 v2, v3, 0x4f800000, v2
	v_rcp_f32_e32 v2, v2
	s_waitcnt_depctr 0xfff
	v_mul_f32_e32 v2, 0x5f7ffffc, v2
	s_delay_alu instid0(VALU_DEP_1) | instskip(NEXT) | instid1(VALU_DEP_1)
	v_mul_f32_e32 v3, 0x2f800000, v2
	v_trunc_f32_e32 v3, v3
	s_delay_alu instid0(VALU_DEP_1) | instskip(SKIP_1) | instid1(VALU_DEP_2)
	v_fmamk_f32 v2, v3, 0xcf800000, v2
	v_cvt_u32_f32_e32 v3, v3
	v_cvt_u32_f32_e32 v2, v2
	s_delay_alu instid0(VALU_DEP_2) | instskip(NEXT) | instid1(VALU_DEP_2)
	v_mul_lo_u32 v4, s0, v3
	v_mul_hi_u32 v5, s0, v2
	v_mul_lo_u32 v7, s6, v2
	s_delay_alu instid0(VALU_DEP_2) | instskip(SKIP_1) | instid1(VALU_DEP_2)
	v_add_nc_u32_e32 v4, v5, v4
	v_mul_lo_u32 v5, s0, v2
	v_add_nc_u32_e32 v4, v4, v7
	s_delay_alu instid0(VALU_DEP_2) | instskip(NEXT) | instid1(VALU_DEP_2)
	v_mul_hi_u32 v7, v2, v5
	v_mul_lo_u32 v8, v2, v4
	v_mul_hi_u32 v9, v2, v4
	v_mul_hi_u32 v10, v3, v5
	v_mul_lo_u32 v5, v3, v5
	v_mul_hi_u32 v11, v3, v4
	v_mul_lo_u32 v4, v3, v4
	v_add_co_u32 v7, vcc_lo, v7, v8
	v_add_co_ci_u32_e32 v8, vcc_lo, 0, v9, vcc_lo
	s_delay_alu instid0(VALU_DEP_2) | instskip(NEXT) | instid1(VALU_DEP_2)
	v_add_co_u32 v5, vcc_lo, v7, v5
	v_add_co_ci_u32_e32 v5, vcc_lo, v8, v10, vcc_lo
	v_add_co_ci_u32_e32 v7, vcc_lo, 0, v11, vcc_lo
	s_delay_alu instid0(VALU_DEP_2) | instskip(NEXT) | instid1(VALU_DEP_2)
	v_add_co_u32 v4, vcc_lo, v5, v4
	v_add_co_ci_u32_e32 v5, vcc_lo, 0, v7, vcc_lo
	s_delay_alu instid0(VALU_DEP_2) | instskip(NEXT) | instid1(VALU_DEP_2)
	v_add_co_u32 v2, vcc_lo, v2, v4
	v_add_co_ci_u32_e32 v3, vcc_lo, v3, v5, vcc_lo
	s_delay_alu instid0(VALU_DEP_2) | instskip(SKIP_1) | instid1(VALU_DEP_3)
	v_mul_hi_u32 v4, s0, v2
	v_mul_lo_u32 v7, s6, v2
	v_mul_lo_u32 v5, s0, v3
	s_delay_alu instid0(VALU_DEP_1) | instskip(SKIP_1) | instid1(VALU_DEP_2)
	v_add_nc_u32_e32 v4, v4, v5
	v_mul_lo_u32 v5, s0, v2
	v_add_nc_u32_e32 v4, v4, v7
	s_delay_alu instid0(VALU_DEP_2) | instskip(NEXT) | instid1(VALU_DEP_2)
	v_mul_hi_u32 v7, v2, v5
	v_mul_lo_u32 v8, v2, v4
	v_mul_hi_u32 v9, v2, v4
	v_mul_hi_u32 v10, v3, v5
	v_mul_lo_u32 v5, v3, v5
	v_mul_hi_u32 v11, v3, v4
	v_mul_lo_u32 v4, v3, v4
	v_add_co_u32 v7, vcc_lo, v7, v8
	v_add_co_ci_u32_e32 v8, vcc_lo, 0, v9, vcc_lo
	s_delay_alu instid0(VALU_DEP_2) | instskip(NEXT) | instid1(VALU_DEP_2)
	v_add_co_u32 v5, vcc_lo, v7, v5
	v_add_co_ci_u32_e32 v5, vcc_lo, v8, v10, vcc_lo
	v_add_co_ci_u32_e32 v7, vcc_lo, 0, v11, vcc_lo
	s_delay_alu instid0(VALU_DEP_2) | instskip(NEXT) | instid1(VALU_DEP_2)
	v_add_co_u32 v4, vcc_lo, v5, v4
	v_add_co_ci_u32_e32 v5, vcc_lo, 0, v7, vcc_lo
	s_delay_alu instid0(VALU_DEP_2) | instskip(NEXT) | instid1(VALU_DEP_2)
	v_add_co_u32 v7, vcc_lo, v2, v4
	v_add_co_ci_u32_e32 v9, vcc_lo, v3, v5, vcc_lo
	s_delay_alu instid0(VALU_DEP_2) | instskip(SKIP_1) | instid1(VALU_DEP_3)
	v_mul_hi_u32 v10, v0, v7
	v_mad_u64_u32 v[4:5], null, v1, v7, 0
	v_mad_u64_u32 v[2:3], null, v0, v9, 0
	;; [unrolled: 1-line block ×3, first 2 shown]
	s_delay_alu instid0(VALU_DEP_2) | instskip(NEXT) | instid1(VALU_DEP_3)
	v_add_co_u32 v2, vcc_lo, v10, v2
	v_add_co_ci_u32_e32 v3, vcc_lo, 0, v3, vcc_lo
	s_delay_alu instid0(VALU_DEP_2) | instskip(NEXT) | instid1(VALU_DEP_2)
	v_add_co_u32 v2, vcc_lo, v2, v4
	v_add_co_ci_u32_e32 v2, vcc_lo, v3, v5, vcc_lo
	v_add_co_ci_u32_e32 v3, vcc_lo, 0, v8, vcc_lo
	s_delay_alu instid0(VALU_DEP_2) | instskip(NEXT) | instid1(VALU_DEP_2)
	v_add_co_u32 v4, vcc_lo, v2, v7
	v_add_co_ci_u32_e32 v5, vcc_lo, 0, v3, vcc_lo
	s_delay_alu instid0(VALU_DEP_2) | instskip(SKIP_1) | instid1(VALU_DEP_3)
	v_mul_lo_u32 v7, s11, v4
	v_mad_u64_u32 v[2:3], null, s10, v4, 0
	v_mul_lo_u32 v4, s10, v5
	s_delay_alu instid0(VALU_DEP_2) | instskip(NEXT) | instid1(VALU_DEP_2)
	v_sub_co_u32 v2, vcc_lo, v0, v2
	v_add3_u32 v3, v3, v4, v7
	s_delay_alu instid0(VALU_DEP_1) | instskip(NEXT) | instid1(VALU_DEP_1)
	v_sub_nc_u32_e32 v4, v1, v3
	v_subrev_co_ci_u32_e64 v4, s0, s11, v4, vcc_lo
	v_sub_co_ci_u32_e32 v3, vcc_lo, v1, v3, vcc_lo
	v_sub_co_u32 v5, vcc_lo, v2, s10
	s_delay_alu instid0(VALU_DEP_1) | instskip(SKIP_3) | instid1(VALU_DEP_3)
	v_subrev_co_ci_u32_e64 v7, s0, 0, v4, vcc_lo
	v_cmp_le_u32_e64 s0, s10, v2
	v_subrev_co_ci_u32_e32 v4, vcc_lo, s11, v4, vcc_lo
	v_cmp_le_u32_e32 vcc_lo, s11, v3
	v_cndmask_b32_e64 v8, 0, -1, s0
	v_cmp_le_u32_e64 s0, s10, v5
	v_cndmask_b32_e64 v11, 0, -1, vcc_lo
	v_cmp_eq_u32_e32 vcc_lo, s11, v7
	s_delay_alu instid0(VALU_DEP_3) | instskip(SKIP_1) | instid1(VALU_DEP_1)
	v_cndmask_b32_e64 v9, 0, -1, s0
	v_cmp_le_u32_e64 s0, s11, v7
	v_cndmask_b32_e64 v10, 0, -1, s0
	v_cmp_eq_u32_e64 s0, s11, v3
	s_delay_alu instid0(VALU_DEP_2) | instskip(SKIP_2) | instid1(VALU_DEP_3)
	v_cndmask_b32_e32 v9, v10, v9, vcc_lo
	v_sub_co_u32 v10, vcc_lo, v5, s10
	v_subrev_co_ci_u32_e32 v4, vcc_lo, 0, v4, vcc_lo
	v_cmp_ne_u32_e32 vcc_lo, 0, v9
	v_cndmask_b32_e64 v8, v11, v8, s0
	s_delay_alu instid0(VALU_DEP_3) | instskip(NEXT) | instid1(VALU_DEP_2)
	v_dual_cndmask_b32 v5, v5, v10 :: v_dual_cndmask_b32 v4, v7, v4
	v_cmp_ne_u32_e32 vcc_lo, 0, v8
	s_delay_alu instid0(VALU_DEP_2)
	v_dual_cndmask_b32 v3, v3, v4 :: v_dual_cndmask_b32 v2, v2, v5
.LBB35_7:
	s_and_not1_saveexec_b32 s0, s1
	s_cbranch_execz .LBB35_9
; %bb.8:
	v_cvt_f32_u32_e32 v2, s10
	s_sub_i32 s1, 0, s10
	s_delay_alu instid0(VALU_DEP_1) | instskip(SKIP_2) | instid1(VALU_DEP_1)
	v_rcp_iflag_f32_e32 v2, v2
	s_waitcnt_depctr 0xfff
	v_mul_f32_e32 v2, 0x4f7ffffe, v2
	v_cvt_u32_f32_e32 v2, v2
	s_delay_alu instid0(VALU_DEP_1) | instskip(NEXT) | instid1(VALU_DEP_1)
	v_mul_lo_u32 v3, s1, v2
	v_mul_hi_u32 v3, v2, v3
	s_delay_alu instid0(VALU_DEP_1) | instskip(NEXT) | instid1(VALU_DEP_1)
	v_add_nc_u32_e32 v2, v2, v3
	v_mul_hi_u32 v2, v0, v2
	s_delay_alu instid0(VALU_DEP_1) | instskip(NEXT) | instid1(VALU_DEP_1)
	v_mul_lo_u32 v2, v2, s10
	v_sub_nc_u32_e32 v2, v0, v2
	s_delay_alu instid0(VALU_DEP_1) | instskip(SKIP_1) | instid1(VALU_DEP_2)
	v_subrev_nc_u32_e32 v3, s10, v2
	v_cmp_le_u32_e32 vcc_lo, s10, v2
	v_cndmask_b32_e32 v2, v2, v3, vcc_lo
	s_delay_alu instid0(VALU_DEP_1) | instskip(SKIP_1) | instid1(VALU_DEP_2)
	v_subrev_nc_u32_e32 v3, s10, v2
	v_cmp_le_u32_e32 vcc_lo, s10, v2
	v_dual_cndmask_b32 v2, v2, v3 :: v_dual_mov_b32 v3, 0
.LBB35_9:
	s_or_b32 exec_lo, exec_lo, s0
	s_waitcnt lgkmcnt(0)
	s_delay_alu instid0(VALU_DEP_1) | instskip(SKIP_1) | instid1(VALU_DEP_1)
	v_or_b32_e32 v5, s3, v3
	v_mov_b32_e32 v4, 0
	v_cmp_ne_u64_e32 vcc_lo, 0, v[4:5]
                                        ; implicit-def: $vgpr4_vgpr5
	s_and_saveexec_b32 s0, vcc_lo
	s_delay_alu instid0(SALU_CYCLE_1)
	s_xor_b32 s1, exec_lo, s0
	s_cbranch_execz .LBB35_11
; %bb.10:
	v_cvt_f32_u32_e32 v4, s2
	v_cvt_f32_u32_e32 v5, s3
	s_sub_u32 s0, 0, s2
	s_subb_u32 s6, 0, s3
	s_delay_alu instid0(VALU_DEP_1) | instskip(NEXT) | instid1(VALU_DEP_1)
	v_fmamk_f32 v4, v5, 0x4f800000, v4
	v_rcp_f32_e32 v4, v4
	s_waitcnt_depctr 0xfff
	v_mul_f32_e32 v4, 0x5f7ffffc, v4
	s_delay_alu instid0(VALU_DEP_1) | instskip(NEXT) | instid1(VALU_DEP_1)
	v_mul_f32_e32 v5, 0x2f800000, v4
	v_trunc_f32_e32 v5, v5
	s_delay_alu instid0(VALU_DEP_1) | instskip(SKIP_1) | instid1(VALU_DEP_2)
	v_fmamk_f32 v4, v5, 0xcf800000, v4
	v_cvt_u32_f32_e32 v5, v5
	v_cvt_u32_f32_e32 v4, v4
	s_delay_alu instid0(VALU_DEP_2) | instskip(NEXT) | instid1(VALU_DEP_2)
	v_mul_lo_u32 v7, s0, v5
	v_mul_hi_u32 v8, s0, v4
	v_mul_lo_u32 v9, s6, v4
	s_delay_alu instid0(VALU_DEP_2) | instskip(SKIP_1) | instid1(VALU_DEP_2)
	v_add_nc_u32_e32 v7, v8, v7
	v_mul_lo_u32 v8, s0, v4
	v_add_nc_u32_e32 v7, v7, v9
	s_delay_alu instid0(VALU_DEP_2) | instskip(NEXT) | instid1(VALU_DEP_2)
	v_mul_hi_u32 v9, v4, v8
	v_mul_lo_u32 v10, v4, v7
	v_mul_hi_u32 v11, v4, v7
	v_mul_hi_u32 v12, v5, v8
	v_mul_lo_u32 v8, v5, v8
	v_mul_hi_u32 v13, v5, v7
	v_mul_lo_u32 v7, v5, v7
	v_add_co_u32 v9, vcc_lo, v9, v10
	v_add_co_ci_u32_e32 v10, vcc_lo, 0, v11, vcc_lo
	s_delay_alu instid0(VALU_DEP_2) | instskip(NEXT) | instid1(VALU_DEP_2)
	v_add_co_u32 v8, vcc_lo, v9, v8
	v_add_co_ci_u32_e32 v8, vcc_lo, v10, v12, vcc_lo
	v_add_co_ci_u32_e32 v9, vcc_lo, 0, v13, vcc_lo
	s_delay_alu instid0(VALU_DEP_2) | instskip(NEXT) | instid1(VALU_DEP_2)
	v_add_co_u32 v7, vcc_lo, v8, v7
	v_add_co_ci_u32_e32 v8, vcc_lo, 0, v9, vcc_lo
	s_delay_alu instid0(VALU_DEP_2) | instskip(NEXT) | instid1(VALU_DEP_2)
	v_add_co_u32 v4, vcc_lo, v4, v7
	v_add_co_ci_u32_e32 v5, vcc_lo, v5, v8, vcc_lo
	s_delay_alu instid0(VALU_DEP_2) | instskip(SKIP_1) | instid1(VALU_DEP_3)
	v_mul_hi_u32 v7, s0, v4
	v_mul_lo_u32 v9, s6, v4
	v_mul_lo_u32 v8, s0, v5
	s_delay_alu instid0(VALU_DEP_1) | instskip(SKIP_1) | instid1(VALU_DEP_2)
	v_add_nc_u32_e32 v7, v7, v8
	v_mul_lo_u32 v8, s0, v4
	v_add_nc_u32_e32 v7, v7, v9
	s_delay_alu instid0(VALU_DEP_2) | instskip(NEXT) | instid1(VALU_DEP_2)
	v_mul_hi_u32 v9, v4, v8
	v_mul_lo_u32 v10, v4, v7
	v_mul_hi_u32 v11, v4, v7
	v_mul_hi_u32 v12, v5, v8
	v_mul_lo_u32 v8, v5, v8
	v_mul_hi_u32 v13, v5, v7
	v_mul_lo_u32 v7, v5, v7
	v_add_co_u32 v9, vcc_lo, v9, v10
	v_add_co_ci_u32_e32 v10, vcc_lo, 0, v11, vcc_lo
	s_delay_alu instid0(VALU_DEP_2) | instskip(NEXT) | instid1(VALU_DEP_2)
	v_add_co_u32 v8, vcc_lo, v9, v8
	v_add_co_ci_u32_e32 v8, vcc_lo, v10, v12, vcc_lo
	v_add_co_ci_u32_e32 v9, vcc_lo, 0, v13, vcc_lo
	s_delay_alu instid0(VALU_DEP_2) | instskip(NEXT) | instid1(VALU_DEP_2)
	v_add_co_u32 v7, vcc_lo, v8, v7
	v_add_co_ci_u32_e32 v8, vcc_lo, 0, v9, vcc_lo
	s_delay_alu instid0(VALU_DEP_2) | instskip(NEXT) | instid1(VALU_DEP_2)
	v_add_co_u32 v9, vcc_lo, v4, v7
	v_add_co_ci_u32_e32 v11, vcc_lo, v5, v8, vcc_lo
	s_delay_alu instid0(VALU_DEP_2) | instskip(SKIP_1) | instid1(VALU_DEP_3)
	v_mul_hi_u32 v12, v2, v9
	v_mad_u64_u32 v[7:8], null, v3, v9, 0
	v_mad_u64_u32 v[4:5], null, v2, v11, 0
	;; [unrolled: 1-line block ×3, first 2 shown]
	s_delay_alu instid0(VALU_DEP_2) | instskip(NEXT) | instid1(VALU_DEP_3)
	v_add_co_u32 v4, vcc_lo, v12, v4
	v_add_co_ci_u32_e32 v5, vcc_lo, 0, v5, vcc_lo
	s_delay_alu instid0(VALU_DEP_2) | instskip(NEXT) | instid1(VALU_DEP_2)
	v_add_co_u32 v4, vcc_lo, v4, v7
	v_add_co_ci_u32_e32 v4, vcc_lo, v5, v8, vcc_lo
	v_add_co_ci_u32_e32 v5, vcc_lo, 0, v10, vcc_lo
	s_delay_alu instid0(VALU_DEP_2) | instskip(NEXT) | instid1(VALU_DEP_2)
	v_add_co_u32 v7, vcc_lo, v4, v9
	v_add_co_ci_u32_e32 v8, vcc_lo, 0, v5, vcc_lo
	s_delay_alu instid0(VALU_DEP_2) | instskip(SKIP_1) | instid1(VALU_DEP_3)
	v_mul_lo_u32 v9, s3, v7
	v_mad_u64_u32 v[4:5], null, s2, v7, 0
	v_mul_lo_u32 v8, s2, v8
	s_delay_alu instid0(VALU_DEP_2) | instskip(NEXT) | instid1(VALU_DEP_2)
	v_sub_co_u32 v4, vcc_lo, v2, v4
	v_add3_u32 v5, v5, v8, v9
	v_add_co_u32 v9, s0, v7, 2
	s_delay_alu instid0(VALU_DEP_2) | instskip(NEXT) | instid1(VALU_DEP_1)
	v_sub_nc_u32_e32 v8, v3, v5
	v_subrev_co_ci_u32_e64 v8, s0, s3, v8, vcc_lo
	v_sub_co_u32 v10, s0, v4, s2
	v_sub_co_ci_u32_e32 v3, vcc_lo, v3, v5, vcc_lo
	s_delay_alu instid0(VALU_DEP_3) | instskip(NEXT) | instid1(VALU_DEP_3)
	v_subrev_co_ci_u32_e64 v8, s0, 0, v8, s0
	v_cmp_le_u32_e32 vcc_lo, s2, v10
	v_cndmask_b32_e64 v5, 0, -1, vcc_lo
	s_delay_alu instid0(VALU_DEP_3)
	v_cmp_le_u32_e32 vcc_lo, s3, v8
	v_cndmask_b32_e64 v10, 0, -1, vcc_lo
	v_cmp_le_u32_e32 vcc_lo, s2, v4
	v_cndmask_b32_e64 v4, 0, -1, vcc_lo
	;; [unrolled: 2-line block ×3, first 2 shown]
	v_cmp_eq_u32_e32 vcc_lo, s3, v8
	v_cndmask_b32_e32 v5, v10, v5, vcc_lo
	v_add_co_u32 v8, vcc_lo, v7, 1
	v_cmp_eq_u32_e32 vcc_lo, s3, v3
	v_cndmask_b32_e32 v3, v11, v4, vcc_lo
	s_delay_alu instid0(VALU_DEP_4) | instskip(NEXT) | instid1(VALU_DEP_4)
	v_cmp_ne_u32_e32 vcc_lo, 0, v5
	v_cndmask_b32_e32 v4, v8, v9, vcc_lo
	s_delay_alu instid0(VALU_DEP_3) | instskip(NEXT) | instid1(VALU_DEP_2)
	v_cmp_ne_u32_e32 vcc_lo, 0, v3
	v_cndmask_b32_e32 v4, v7, v4, vcc_lo
.LBB35_11:
	s_and_not1_saveexec_b32 s0, s1
	s_cbranch_execz .LBB35_13
; %bb.12:
	v_cvt_f32_u32_e32 v3, s2
	s_sub_i32 s1, 0, s2
	s_delay_alu instid0(VALU_DEP_1) | instskip(SKIP_2) | instid1(VALU_DEP_1)
	v_rcp_iflag_f32_e32 v3, v3
	s_waitcnt_depctr 0xfff
	v_mul_f32_e32 v3, 0x4f7ffffe, v3
	v_cvt_u32_f32_e32 v3, v3
	s_delay_alu instid0(VALU_DEP_1) | instskip(NEXT) | instid1(VALU_DEP_1)
	v_mul_lo_u32 v4, s1, v3
	v_mul_hi_u32 v4, v3, v4
	s_delay_alu instid0(VALU_DEP_1) | instskip(NEXT) | instid1(VALU_DEP_1)
	v_add_nc_u32_e32 v3, v3, v4
	v_mul_hi_u32 v3, v2, v3
	s_delay_alu instid0(VALU_DEP_1) | instskip(SKIP_1) | instid1(VALU_DEP_2)
	v_mul_lo_u32 v4, v3, s2
	v_add_nc_u32_e32 v5, 1, v3
	v_sub_nc_u32_e32 v4, v2, v4
	s_delay_alu instid0(VALU_DEP_1) | instskip(SKIP_1) | instid1(VALU_DEP_2)
	v_subrev_nc_u32_e32 v7, s2, v4
	v_cmp_le_u32_e32 vcc_lo, s2, v4
	v_dual_cndmask_b32 v4, v4, v7 :: v_dual_cndmask_b32 v3, v3, v5
	s_delay_alu instid0(VALU_DEP_1) | instskip(NEXT) | instid1(VALU_DEP_2)
	v_cmp_le_u32_e32 vcc_lo, s2, v4
	v_add_nc_u32_e32 v5, 1, v3
	s_delay_alu instid0(VALU_DEP_1)
	v_cndmask_b32_e32 v4, v3, v5, vcc_lo
.LBB35_13:
	s_or_b32 exec_lo, exec_lo, s0
	s_delay_alu instid0(VALU_DEP_1) | instskip(SKIP_1) | instid1(VALU_DEP_2)
	v_mul_lo_u32 v3, v4, s2
	v_lshlrev_b64 v[0:1], 1, v[0:1]
	v_sub_nc_u32_e32 v2, v2, v3
	v_lshrrev_b32_e32 v3, 16, v6
	s_delay_alu instid0(VALU_DEP_2) | instskip(NEXT) | instid1(VALU_DEP_2)
	v_xor_b32_e32 v2, v2, v4
	v_xor_b32_e32 v4, 0xffff8000, v3
	s_delay_alu instid0(VALU_DEP_2) | instskip(NEXT) | instid1(VALU_DEP_1)
	v_and_b32_e32 v2, 1, v2
	v_cmp_eq_u32_e32 vcc_lo, 0, v2
	s_delay_alu instid0(VALU_DEP_3)
	v_cndmask_b32_e32 v2, v3, v4, vcc_lo
	v_add_co_u32 v0, vcc_lo, s4, v0
	v_add_co_ci_u32_e32 v1, vcc_lo, s5, v1, vcc_lo
	global_store_b16 v[0:1], v2, off
.LBB35_14:
	s_nop 0
	s_sendmsg sendmsg(MSG_DEALLOC_VGPRS)
	s_endpgm
	.section	.rodata,"a",@progbits
	.p2align	6, 0x0
	.amdhsa_kernel _Z11fill_kernelI12hip_bfloat16Z21hipblaslt_init_deviceIS0_Ev8ABC_dims24hipblaslt_initializationbPT_mmmmmEUlmE1_EvS5_mmT0_
		.amdhsa_group_segment_fixed_size 0
		.amdhsa_private_segment_fixed_size 0
		.amdhsa_kernarg_size 296
		.amdhsa_user_sgpr_count 15
		.amdhsa_user_sgpr_dispatch_ptr 0
		.amdhsa_user_sgpr_queue_ptr 0
		.amdhsa_user_sgpr_kernarg_segment_ptr 1
		.amdhsa_user_sgpr_dispatch_id 0
		.amdhsa_user_sgpr_private_segment_size 0
		.amdhsa_wavefront_size32 1
		.amdhsa_uses_dynamic_stack 0
		.amdhsa_enable_private_segment 0
		.amdhsa_system_sgpr_workgroup_id_x 1
		.amdhsa_system_sgpr_workgroup_id_y 0
		.amdhsa_system_sgpr_workgroup_id_z 0
		.amdhsa_system_sgpr_workgroup_info 0
		.amdhsa_system_vgpr_workitem_id 0
		.amdhsa_next_free_vgpr 14
		.amdhsa_next_free_sgpr 16
		.amdhsa_reserve_vcc 1
		.amdhsa_float_round_mode_32 0
		.amdhsa_float_round_mode_16_64 0
		.amdhsa_float_denorm_mode_32 3
		.amdhsa_float_denorm_mode_16_64 3
		.amdhsa_dx10_clamp 1
		.amdhsa_ieee_mode 1
		.amdhsa_fp16_overflow 0
		.amdhsa_workgroup_processor_mode 1
		.amdhsa_memory_ordered 1
		.amdhsa_forward_progress 0
		.amdhsa_shared_vgpr_count 0
		.amdhsa_exception_fp_ieee_invalid_op 0
		.amdhsa_exception_fp_denorm_src 0
		.amdhsa_exception_fp_ieee_div_zero 0
		.amdhsa_exception_fp_ieee_overflow 0
		.amdhsa_exception_fp_ieee_underflow 0
		.amdhsa_exception_fp_ieee_inexact 0
		.amdhsa_exception_int_div_zero 0
	.end_amdhsa_kernel
	.section	.text._Z11fill_kernelI12hip_bfloat16Z21hipblaslt_init_deviceIS0_Ev8ABC_dims24hipblaslt_initializationbPT_mmmmmEUlmE1_EvS5_mmT0_,"axG",@progbits,_Z11fill_kernelI12hip_bfloat16Z21hipblaslt_init_deviceIS0_Ev8ABC_dims24hipblaslt_initializationbPT_mmmmmEUlmE1_EvS5_mmT0_,comdat
.Lfunc_end35:
	.size	_Z11fill_kernelI12hip_bfloat16Z21hipblaslt_init_deviceIS0_Ev8ABC_dims24hipblaslt_initializationbPT_mmmmmEUlmE1_EvS5_mmT0_, .Lfunc_end35-_Z11fill_kernelI12hip_bfloat16Z21hipblaslt_init_deviceIS0_Ev8ABC_dims24hipblaslt_initializationbPT_mmmmmEUlmE1_EvS5_mmT0_
                                        ; -- End function
	.section	.AMDGPU.csdata,"",@progbits
; Kernel info:
; codeLenInByte = 2336
; NumSgprs: 18
; NumVgprs: 14
; ScratchSize: 0
; MemoryBound: 0
; FloatMode: 240
; IeeeMode: 1
; LDSByteSize: 0 bytes/workgroup (compile time only)
; SGPRBlocks: 2
; VGPRBlocks: 1
; NumSGPRsForWavesPerEU: 18
; NumVGPRsForWavesPerEU: 14
; Occupancy: 16
; WaveLimiterHint : 0
; COMPUTE_PGM_RSRC2:SCRATCH_EN: 0
; COMPUTE_PGM_RSRC2:USER_SGPR: 15
; COMPUTE_PGM_RSRC2:TRAP_HANDLER: 0
; COMPUTE_PGM_RSRC2:TGID_X_EN: 1
; COMPUTE_PGM_RSRC2:TGID_Y_EN: 0
; COMPUTE_PGM_RSRC2:TGID_Z_EN: 0
; COMPUTE_PGM_RSRC2:TIDIG_COMP_CNT: 0
	.section	.text._Z11fill_kernelI12hip_bfloat16Z21hipblaslt_init_deviceIS0_Ev8ABC_dims24hipblaslt_initializationbPT_mmmmmEUlmE2_EvS5_mmT0_,"axG",@progbits,_Z11fill_kernelI12hip_bfloat16Z21hipblaslt_init_deviceIS0_Ev8ABC_dims24hipblaslt_initializationbPT_mmmmmEUlmE2_EvS5_mmT0_,comdat
	.protected	_Z11fill_kernelI12hip_bfloat16Z21hipblaslt_init_deviceIS0_Ev8ABC_dims24hipblaslt_initializationbPT_mmmmmEUlmE2_EvS5_mmT0_ ; -- Begin function _Z11fill_kernelI12hip_bfloat16Z21hipblaslt_init_deviceIS0_Ev8ABC_dims24hipblaslt_initializationbPT_mmmmmEUlmE2_EvS5_mmT0_
	.globl	_Z11fill_kernelI12hip_bfloat16Z21hipblaslt_init_deviceIS0_Ev8ABC_dims24hipblaslt_initializationbPT_mmmmmEUlmE2_EvS5_mmT0_
	.p2align	8
	.type	_Z11fill_kernelI12hip_bfloat16Z21hipblaslt_init_deviceIS0_Ev8ABC_dims24hipblaslt_initializationbPT_mmmmmEUlmE2_EvS5_mmT0_,@function
_Z11fill_kernelI12hip_bfloat16Z21hipblaslt_init_deviceIS0_Ev8ABC_dims24hipblaslt_initializationbPT_mmmmmEUlmE2_EvS5_mmT0_: ; @_Z11fill_kernelI12hip_bfloat16Z21hipblaslt_init_deviceIS0_Ev8ABC_dims24hipblaslt_initializationbPT_mmmmmEUlmE2_EvS5_mmT0_
; %bb.0:
	s_clause 0x1
	s_load_b32 s2, s[0:1], 0x44
	s_load_b128 s[16:19], s[0:1], 0x0
	s_waitcnt lgkmcnt(0)
	s_and_b32 s2, s2, 0xffff
	s_delay_alu instid0(SALU_CYCLE_1) | instskip(SKIP_2) | instid1(VALU_DEP_1)
	v_mad_u64_u32 v[1:2], null, s15, s2, v[0:1]
	v_mov_b32_e32 v2, 0
	s_mov_b32 s2, exec_lo
	v_cmpx_gt_u64_e64 s[18:19], v[1:2]
	s_cbranch_execz .LBB36_18
; %bb.1:
	s_clause 0x1
	s_load_b64 s[2:3], s[0:1], 0x10
	s_load_b256 s[4:11], s[0:1], 0x18
	s_waitcnt lgkmcnt(0)
	v_add_co_u32 v0, s0, v1, s2
	s_delay_alu instid0(VALU_DEP_1) | instskip(NEXT) | instid1(VALU_DEP_1)
	v_add_co_ci_u32_e64 v1, null, 0, s3, s0
	v_or_b32_e32 v3, s9, v1
	s_delay_alu instid0(VALU_DEP_1) | instskip(SKIP_1) | instid1(SALU_CYCLE_1)
	v_cmp_ne_u64_e32 vcc_lo, 0, v[2:3]
                                        ; implicit-def: $vgpr2_vgpr3
	s_and_saveexec_b32 s0, vcc_lo
	s_xor_b32 s1, exec_lo, s0
	s_cbranch_execz .LBB36_3
; %bb.2:
	v_cvt_f32_u32_e32 v2, s8
	v_cvt_f32_u32_e32 v3, s9
	s_sub_u32 s0, 0, s8
	s_subb_u32 s2, 0, s9
	s_delay_alu instid0(VALU_DEP_1) | instskip(NEXT) | instid1(VALU_DEP_1)
	v_fmamk_f32 v2, v3, 0x4f800000, v2
	v_rcp_f32_e32 v2, v2
	s_waitcnt_depctr 0xfff
	v_mul_f32_e32 v2, 0x5f7ffffc, v2
	s_delay_alu instid0(VALU_DEP_1) | instskip(NEXT) | instid1(VALU_DEP_1)
	v_mul_f32_e32 v3, 0x2f800000, v2
	v_trunc_f32_e32 v3, v3
	s_delay_alu instid0(VALU_DEP_1) | instskip(SKIP_1) | instid1(VALU_DEP_2)
	v_fmamk_f32 v2, v3, 0xcf800000, v2
	v_cvt_u32_f32_e32 v3, v3
	v_cvt_u32_f32_e32 v2, v2
	s_delay_alu instid0(VALU_DEP_2) | instskip(NEXT) | instid1(VALU_DEP_2)
	v_mul_lo_u32 v4, s0, v3
	v_mul_hi_u32 v5, s0, v2
	v_mul_lo_u32 v6, s2, v2
	s_delay_alu instid0(VALU_DEP_2) | instskip(SKIP_1) | instid1(VALU_DEP_2)
	v_add_nc_u32_e32 v4, v5, v4
	v_mul_lo_u32 v5, s0, v2
	v_add_nc_u32_e32 v4, v4, v6
	s_delay_alu instid0(VALU_DEP_2) | instskip(NEXT) | instid1(VALU_DEP_2)
	v_mul_hi_u32 v6, v2, v5
	v_mul_lo_u32 v7, v2, v4
	v_mul_hi_u32 v8, v2, v4
	v_mul_hi_u32 v9, v3, v5
	v_mul_lo_u32 v5, v3, v5
	v_mul_hi_u32 v10, v3, v4
	v_mul_lo_u32 v4, v3, v4
	v_add_co_u32 v6, vcc_lo, v6, v7
	v_add_co_ci_u32_e32 v7, vcc_lo, 0, v8, vcc_lo
	s_delay_alu instid0(VALU_DEP_2) | instskip(NEXT) | instid1(VALU_DEP_2)
	v_add_co_u32 v5, vcc_lo, v6, v5
	v_add_co_ci_u32_e32 v5, vcc_lo, v7, v9, vcc_lo
	v_add_co_ci_u32_e32 v6, vcc_lo, 0, v10, vcc_lo
	s_delay_alu instid0(VALU_DEP_2) | instskip(NEXT) | instid1(VALU_DEP_2)
	v_add_co_u32 v4, vcc_lo, v5, v4
	v_add_co_ci_u32_e32 v5, vcc_lo, 0, v6, vcc_lo
	s_delay_alu instid0(VALU_DEP_2) | instskip(NEXT) | instid1(VALU_DEP_2)
	v_add_co_u32 v2, vcc_lo, v2, v4
	v_add_co_ci_u32_e32 v3, vcc_lo, v3, v5, vcc_lo
	s_delay_alu instid0(VALU_DEP_2) | instskip(SKIP_1) | instid1(VALU_DEP_3)
	v_mul_hi_u32 v4, s0, v2
	v_mul_lo_u32 v6, s2, v2
	v_mul_lo_u32 v5, s0, v3
	s_delay_alu instid0(VALU_DEP_1) | instskip(SKIP_1) | instid1(VALU_DEP_2)
	v_add_nc_u32_e32 v4, v4, v5
	v_mul_lo_u32 v5, s0, v2
	v_add_nc_u32_e32 v4, v4, v6
	s_delay_alu instid0(VALU_DEP_2) | instskip(NEXT) | instid1(VALU_DEP_2)
	v_mul_hi_u32 v6, v2, v5
	v_mul_lo_u32 v7, v2, v4
	v_mul_hi_u32 v8, v2, v4
	v_mul_hi_u32 v9, v3, v5
	v_mul_lo_u32 v5, v3, v5
	v_mul_hi_u32 v10, v3, v4
	v_mul_lo_u32 v4, v3, v4
	v_add_co_u32 v6, vcc_lo, v6, v7
	v_add_co_ci_u32_e32 v7, vcc_lo, 0, v8, vcc_lo
	s_delay_alu instid0(VALU_DEP_2) | instskip(NEXT) | instid1(VALU_DEP_2)
	v_add_co_u32 v5, vcc_lo, v6, v5
	v_add_co_ci_u32_e32 v5, vcc_lo, v7, v9, vcc_lo
	v_add_co_ci_u32_e32 v6, vcc_lo, 0, v10, vcc_lo
	s_delay_alu instid0(VALU_DEP_2) | instskip(NEXT) | instid1(VALU_DEP_2)
	v_add_co_u32 v4, vcc_lo, v5, v4
	v_add_co_ci_u32_e32 v5, vcc_lo, 0, v6, vcc_lo
	s_delay_alu instid0(VALU_DEP_2) | instskip(NEXT) | instid1(VALU_DEP_2)
	v_add_co_u32 v6, vcc_lo, v2, v4
	v_add_co_ci_u32_e32 v8, vcc_lo, v3, v5, vcc_lo
	s_delay_alu instid0(VALU_DEP_2) | instskip(SKIP_1) | instid1(VALU_DEP_3)
	v_mul_hi_u32 v9, v0, v6
	v_mad_u64_u32 v[4:5], null, v1, v6, 0
	v_mad_u64_u32 v[2:3], null, v0, v8, 0
	;; [unrolled: 1-line block ×3, first 2 shown]
	s_delay_alu instid0(VALU_DEP_2) | instskip(NEXT) | instid1(VALU_DEP_3)
	v_add_co_u32 v2, vcc_lo, v9, v2
	v_add_co_ci_u32_e32 v3, vcc_lo, 0, v3, vcc_lo
	s_delay_alu instid0(VALU_DEP_2) | instskip(NEXT) | instid1(VALU_DEP_2)
	v_add_co_u32 v2, vcc_lo, v2, v4
	v_add_co_ci_u32_e32 v2, vcc_lo, v3, v5, vcc_lo
	v_add_co_ci_u32_e32 v3, vcc_lo, 0, v7, vcc_lo
	s_delay_alu instid0(VALU_DEP_2) | instskip(NEXT) | instid1(VALU_DEP_2)
	v_add_co_u32 v4, vcc_lo, v2, v6
	v_add_co_ci_u32_e32 v5, vcc_lo, 0, v3, vcc_lo
	s_delay_alu instid0(VALU_DEP_2) | instskip(SKIP_1) | instid1(VALU_DEP_3)
	v_mul_lo_u32 v6, s9, v4
	v_mad_u64_u32 v[2:3], null, s8, v4, 0
	v_mul_lo_u32 v7, s8, v5
	s_delay_alu instid0(VALU_DEP_2) | instskip(NEXT) | instid1(VALU_DEP_2)
	v_sub_co_u32 v2, vcc_lo, v0, v2
	v_add3_u32 v3, v3, v7, v6
	s_delay_alu instid0(VALU_DEP_1) | instskip(NEXT) | instid1(VALU_DEP_1)
	v_sub_nc_u32_e32 v6, v1, v3
	v_subrev_co_ci_u32_e64 v6, s0, s9, v6, vcc_lo
	v_add_co_u32 v7, s0, v4, 2
	s_delay_alu instid0(VALU_DEP_1) | instskip(SKIP_3) | instid1(VALU_DEP_3)
	v_add_co_ci_u32_e64 v8, s0, 0, v5, s0
	v_sub_co_u32 v9, s0, v2, s8
	v_sub_co_ci_u32_e32 v3, vcc_lo, v1, v3, vcc_lo
	v_subrev_co_ci_u32_e64 v6, s0, 0, v6, s0
	v_cmp_le_u32_e32 vcc_lo, s8, v9
	s_delay_alu instid0(VALU_DEP_3) | instskip(SKIP_1) | instid1(VALU_DEP_4)
	v_cmp_eq_u32_e64 s0, s9, v3
	v_cndmask_b32_e64 v9, 0, -1, vcc_lo
	v_cmp_le_u32_e32 vcc_lo, s9, v6
	v_cndmask_b32_e64 v10, 0, -1, vcc_lo
	v_cmp_le_u32_e32 vcc_lo, s8, v2
	;; [unrolled: 2-line block ×3, first 2 shown]
	v_cndmask_b32_e64 v11, 0, -1, vcc_lo
	v_cmp_eq_u32_e32 vcc_lo, s9, v6
	s_delay_alu instid0(VALU_DEP_2) | instskip(SKIP_3) | instid1(VALU_DEP_3)
	v_cndmask_b32_e64 v2, v11, v2, s0
	v_cndmask_b32_e32 v6, v10, v9, vcc_lo
	v_add_co_u32 v9, vcc_lo, v4, 1
	v_add_co_ci_u32_e32 v10, vcc_lo, 0, v5, vcc_lo
	v_cmp_ne_u32_e32 vcc_lo, 0, v6
	s_delay_alu instid0(VALU_DEP_2) | instskip(SKIP_1) | instid1(VALU_DEP_2)
	v_dual_cndmask_b32 v3, v10, v8 :: v_dual_cndmask_b32 v6, v9, v7
	v_cmp_ne_u32_e32 vcc_lo, 0, v2
	v_dual_cndmask_b32 v3, v5, v3 :: v_dual_cndmask_b32 v2, v4, v6
.LBB36_3:
	s_and_not1_saveexec_b32 s0, s1
	s_cbranch_execz .LBB36_5
; %bb.4:
	v_cvt_f32_u32_e32 v2, s8
	s_sub_i32 s1, 0, s8
	s_delay_alu instid0(VALU_DEP_1) | instskip(SKIP_2) | instid1(VALU_DEP_1)
	v_rcp_iflag_f32_e32 v2, v2
	s_waitcnt_depctr 0xfff
	v_mul_f32_e32 v2, 0x4f7ffffe, v2
	v_cvt_u32_f32_e32 v2, v2
	s_delay_alu instid0(VALU_DEP_1) | instskip(NEXT) | instid1(VALU_DEP_1)
	v_mul_lo_u32 v3, s1, v2
	v_mul_hi_u32 v3, v2, v3
	s_delay_alu instid0(VALU_DEP_1) | instskip(NEXT) | instid1(VALU_DEP_1)
	v_add_nc_u32_e32 v2, v2, v3
	v_mul_hi_u32 v2, v0, v2
	s_delay_alu instid0(VALU_DEP_1) | instskip(SKIP_1) | instid1(VALU_DEP_2)
	v_mul_lo_u32 v3, v2, s8
	v_add_nc_u32_e32 v4, 1, v2
	v_sub_nc_u32_e32 v3, v0, v3
	s_delay_alu instid0(VALU_DEP_1) | instskip(SKIP_1) | instid1(VALU_DEP_2)
	v_subrev_nc_u32_e32 v5, s8, v3
	v_cmp_le_u32_e32 vcc_lo, s8, v3
	v_dual_cndmask_b32 v3, v3, v5 :: v_dual_cndmask_b32 v2, v2, v4
	s_delay_alu instid0(VALU_DEP_1) | instskip(NEXT) | instid1(VALU_DEP_2)
	v_cmp_le_u32_e32 vcc_lo, s8, v3
	v_dual_mov_b32 v3, 0 :: v_dual_add_nc_u32 v4, 1, v2
	s_delay_alu instid0(VALU_DEP_1)
	v_cndmask_b32_e32 v2, v2, v4, vcc_lo
.LBB36_5:
	s_or_b32 exec_lo, exec_lo, s0
	s_delay_alu instid0(VALU_DEP_1) | instskip(NEXT) | instid1(VALU_DEP_2)
	v_mul_lo_u32 v6, v3, s8
	v_mul_lo_u32 v7, v2, s9
	v_mad_u64_u32 v[4:5], null, v2, s8, 0
	s_delay_alu instid0(VALU_DEP_1) | instskip(NEXT) | instid1(VALU_DEP_2)
	v_add3_u32 v5, v5, v7, v6
	v_sub_co_u32 v6, vcc_lo, v0, v4
	v_mov_b32_e32 v4, 0
	s_delay_alu instid0(VALU_DEP_3) | instskip(NEXT) | instid1(VALU_DEP_1)
	v_sub_co_ci_u32_e32 v7, vcc_lo, v1, v5, vcc_lo
	v_or_b32_e32 v5, s11, v7
	s_delay_alu instid0(VALU_DEP_1) | instskip(SKIP_1) | instid1(SALU_CYCLE_1)
	v_cmp_ne_u64_e32 vcc_lo, 0, v[4:5]
                                        ; implicit-def: $vgpr4_vgpr5
	s_and_saveexec_b32 s0, vcc_lo
	s_xor_b32 s1, exec_lo, s0
	s_cbranch_execz .LBB36_7
; %bb.6:
	v_cvt_f32_u32_e32 v4, s10
	v_cvt_f32_u32_e32 v5, s11
	s_sub_u32 s0, 0, s10
	s_subb_u32 s2, 0, s11
	s_delay_alu instid0(VALU_DEP_1) | instskip(NEXT) | instid1(VALU_DEP_1)
	v_fmamk_f32 v4, v5, 0x4f800000, v4
	v_rcp_f32_e32 v4, v4
	s_waitcnt_depctr 0xfff
	v_mul_f32_e32 v4, 0x5f7ffffc, v4
	s_delay_alu instid0(VALU_DEP_1) | instskip(NEXT) | instid1(VALU_DEP_1)
	v_mul_f32_e32 v5, 0x2f800000, v4
	v_trunc_f32_e32 v5, v5
	s_delay_alu instid0(VALU_DEP_1) | instskip(SKIP_1) | instid1(VALU_DEP_2)
	v_fmamk_f32 v4, v5, 0xcf800000, v4
	v_cvt_u32_f32_e32 v5, v5
	v_cvt_u32_f32_e32 v4, v4
	s_delay_alu instid0(VALU_DEP_2) | instskip(NEXT) | instid1(VALU_DEP_2)
	v_mul_lo_u32 v8, s0, v5
	v_mul_hi_u32 v9, s0, v4
	v_mul_lo_u32 v10, s2, v4
	s_delay_alu instid0(VALU_DEP_2) | instskip(SKIP_1) | instid1(VALU_DEP_2)
	v_add_nc_u32_e32 v8, v9, v8
	v_mul_lo_u32 v9, s0, v4
	v_add_nc_u32_e32 v8, v8, v10
	s_delay_alu instid0(VALU_DEP_2) | instskip(NEXT) | instid1(VALU_DEP_2)
	v_mul_hi_u32 v10, v4, v9
	v_mul_lo_u32 v11, v4, v8
	v_mul_hi_u32 v12, v4, v8
	v_mul_hi_u32 v13, v5, v9
	v_mul_lo_u32 v9, v5, v9
	v_mul_hi_u32 v14, v5, v8
	v_mul_lo_u32 v8, v5, v8
	v_add_co_u32 v10, vcc_lo, v10, v11
	v_add_co_ci_u32_e32 v11, vcc_lo, 0, v12, vcc_lo
	s_delay_alu instid0(VALU_DEP_2) | instskip(NEXT) | instid1(VALU_DEP_2)
	v_add_co_u32 v9, vcc_lo, v10, v9
	v_add_co_ci_u32_e32 v9, vcc_lo, v11, v13, vcc_lo
	v_add_co_ci_u32_e32 v10, vcc_lo, 0, v14, vcc_lo
	s_delay_alu instid0(VALU_DEP_2) | instskip(NEXT) | instid1(VALU_DEP_2)
	v_add_co_u32 v8, vcc_lo, v9, v8
	v_add_co_ci_u32_e32 v9, vcc_lo, 0, v10, vcc_lo
	s_delay_alu instid0(VALU_DEP_2) | instskip(NEXT) | instid1(VALU_DEP_2)
	v_add_co_u32 v4, vcc_lo, v4, v8
	v_add_co_ci_u32_e32 v5, vcc_lo, v5, v9, vcc_lo
	s_delay_alu instid0(VALU_DEP_2) | instskip(SKIP_1) | instid1(VALU_DEP_3)
	v_mul_hi_u32 v8, s0, v4
	v_mul_lo_u32 v10, s2, v4
	v_mul_lo_u32 v9, s0, v5
	s_delay_alu instid0(VALU_DEP_1) | instskip(SKIP_1) | instid1(VALU_DEP_2)
	v_add_nc_u32_e32 v8, v8, v9
	v_mul_lo_u32 v9, s0, v4
	v_add_nc_u32_e32 v8, v8, v10
	s_delay_alu instid0(VALU_DEP_2) | instskip(NEXT) | instid1(VALU_DEP_2)
	v_mul_hi_u32 v10, v4, v9
	v_mul_lo_u32 v11, v4, v8
	v_mul_hi_u32 v12, v4, v8
	v_mul_hi_u32 v13, v5, v9
	v_mul_lo_u32 v9, v5, v9
	v_mul_hi_u32 v14, v5, v8
	v_mul_lo_u32 v8, v5, v8
	v_add_co_u32 v10, vcc_lo, v10, v11
	v_add_co_ci_u32_e32 v11, vcc_lo, 0, v12, vcc_lo
	s_delay_alu instid0(VALU_DEP_2) | instskip(NEXT) | instid1(VALU_DEP_2)
	v_add_co_u32 v9, vcc_lo, v10, v9
	v_add_co_ci_u32_e32 v9, vcc_lo, v11, v13, vcc_lo
	v_add_co_ci_u32_e32 v10, vcc_lo, 0, v14, vcc_lo
	s_delay_alu instid0(VALU_DEP_2) | instskip(NEXT) | instid1(VALU_DEP_2)
	v_add_co_u32 v8, vcc_lo, v9, v8
	v_add_co_ci_u32_e32 v9, vcc_lo, 0, v10, vcc_lo
	s_delay_alu instid0(VALU_DEP_2) | instskip(NEXT) | instid1(VALU_DEP_2)
	v_add_co_u32 v10, vcc_lo, v4, v8
	v_add_co_ci_u32_e32 v12, vcc_lo, v5, v9, vcc_lo
	s_delay_alu instid0(VALU_DEP_2) | instskip(SKIP_1) | instid1(VALU_DEP_3)
	v_mul_hi_u32 v13, v6, v10
	v_mad_u64_u32 v[8:9], null, v7, v10, 0
	v_mad_u64_u32 v[4:5], null, v6, v12, 0
	;; [unrolled: 1-line block ×3, first 2 shown]
	s_delay_alu instid0(VALU_DEP_2) | instskip(NEXT) | instid1(VALU_DEP_3)
	v_add_co_u32 v4, vcc_lo, v13, v4
	v_add_co_ci_u32_e32 v5, vcc_lo, 0, v5, vcc_lo
	s_delay_alu instid0(VALU_DEP_2) | instskip(NEXT) | instid1(VALU_DEP_2)
	v_add_co_u32 v4, vcc_lo, v4, v8
	v_add_co_ci_u32_e32 v4, vcc_lo, v5, v9, vcc_lo
	v_add_co_ci_u32_e32 v5, vcc_lo, 0, v11, vcc_lo
	s_delay_alu instid0(VALU_DEP_2) | instskip(NEXT) | instid1(VALU_DEP_2)
	v_add_co_u32 v8, vcc_lo, v4, v10
	v_add_co_ci_u32_e32 v9, vcc_lo, 0, v5, vcc_lo
	s_delay_alu instid0(VALU_DEP_2) | instskip(SKIP_1) | instid1(VALU_DEP_3)
	v_mul_lo_u32 v10, s11, v8
	v_mad_u64_u32 v[4:5], null, s10, v8, 0
	v_mul_lo_u32 v11, s10, v9
	s_delay_alu instid0(VALU_DEP_2) | instskip(NEXT) | instid1(VALU_DEP_2)
	v_sub_co_u32 v4, vcc_lo, v6, v4
	v_add3_u32 v5, v5, v11, v10
	s_delay_alu instid0(VALU_DEP_1) | instskip(NEXT) | instid1(VALU_DEP_1)
	v_sub_nc_u32_e32 v10, v7, v5
	v_subrev_co_ci_u32_e64 v10, s0, s11, v10, vcc_lo
	v_add_co_u32 v11, s0, v8, 2
	s_delay_alu instid0(VALU_DEP_1) | instskip(SKIP_3) | instid1(VALU_DEP_3)
	v_add_co_ci_u32_e64 v12, s0, 0, v9, s0
	v_sub_co_u32 v13, s0, v4, s10
	v_sub_co_ci_u32_e32 v5, vcc_lo, v7, v5, vcc_lo
	v_subrev_co_ci_u32_e64 v10, s0, 0, v10, s0
	v_cmp_le_u32_e32 vcc_lo, s10, v13
	s_delay_alu instid0(VALU_DEP_3) | instskip(SKIP_1) | instid1(VALU_DEP_4)
	v_cmp_eq_u32_e64 s0, s11, v5
	v_cndmask_b32_e64 v13, 0, -1, vcc_lo
	v_cmp_le_u32_e32 vcc_lo, s11, v10
	v_cndmask_b32_e64 v14, 0, -1, vcc_lo
	v_cmp_le_u32_e32 vcc_lo, s10, v4
	;; [unrolled: 2-line block ×3, first 2 shown]
	v_cndmask_b32_e64 v15, 0, -1, vcc_lo
	v_cmp_eq_u32_e32 vcc_lo, s11, v10
	s_delay_alu instid0(VALU_DEP_2) | instskip(SKIP_3) | instid1(VALU_DEP_3)
	v_cndmask_b32_e64 v4, v15, v4, s0
	v_cndmask_b32_e32 v10, v14, v13, vcc_lo
	v_add_co_u32 v13, vcc_lo, v8, 1
	v_add_co_ci_u32_e32 v14, vcc_lo, 0, v9, vcc_lo
	v_cmp_ne_u32_e32 vcc_lo, 0, v10
	s_delay_alu instid0(VALU_DEP_2) | instskip(SKIP_1) | instid1(VALU_DEP_2)
	v_dual_cndmask_b32 v5, v14, v12 :: v_dual_cndmask_b32 v10, v13, v11
	v_cmp_ne_u32_e32 vcc_lo, 0, v4
	v_dual_cndmask_b32 v5, v9, v5 :: v_dual_cndmask_b32 v4, v8, v10
.LBB36_7:
	s_and_not1_saveexec_b32 s0, s1
	s_cbranch_execz .LBB36_9
; %bb.8:
	v_cvt_f32_u32_e32 v4, s10
	s_sub_i32 s1, 0, s10
	s_delay_alu instid0(VALU_DEP_1) | instskip(SKIP_2) | instid1(VALU_DEP_1)
	v_rcp_iflag_f32_e32 v4, v4
	s_waitcnt_depctr 0xfff
	v_mul_f32_e32 v4, 0x4f7ffffe, v4
	v_cvt_u32_f32_e32 v4, v4
	s_delay_alu instid0(VALU_DEP_1) | instskip(NEXT) | instid1(VALU_DEP_1)
	v_mul_lo_u32 v5, s1, v4
	v_mul_hi_u32 v5, v4, v5
	s_delay_alu instid0(VALU_DEP_1) | instskip(NEXT) | instid1(VALU_DEP_1)
	v_add_nc_u32_e32 v4, v4, v5
	v_mul_hi_u32 v4, v6, v4
	s_delay_alu instid0(VALU_DEP_1) | instskip(SKIP_1) | instid1(VALU_DEP_2)
	v_mul_lo_u32 v5, v4, s10
	v_add_nc_u32_e32 v8, 1, v4
	v_sub_nc_u32_e32 v5, v6, v5
	s_delay_alu instid0(VALU_DEP_1) | instskip(SKIP_1) | instid1(VALU_DEP_2)
	v_subrev_nc_u32_e32 v9, s10, v5
	v_cmp_le_u32_e32 vcc_lo, s10, v5
	v_dual_cndmask_b32 v5, v5, v9 :: v_dual_cndmask_b32 v4, v4, v8
	s_delay_alu instid0(VALU_DEP_1) | instskip(NEXT) | instid1(VALU_DEP_2)
	v_cmp_le_u32_e32 vcc_lo, s10, v5
	v_dual_mov_b32 v5, 0 :: v_dual_add_nc_u32 v8, 1, v4
	s_delay_alu instid0(VALU_DEP_1)
	v_cndmask_b32_e32 v4, v4, v8, vcc_lo
.LBB36_9:
	s_or_b32 exec_lo, exec_lo, s0
	s_delay_alu instid0(VALU_DEP_1) | instskip(NEXT) | instid1(VALU_DEP_2)
	v_mul_lo_u32 v12, v5, s10
	v_mul_lo_u32 v13, v4, s11
	v_mad_u64_u32 v[8:9], null, v4, s10, 0
	v_mad_u64_u32 v[10:11], null, v2, s6, v[4:5]
	v_mul_lo_u32 v2, v2, s7
	v_mul_lo_u32 v3, v3, s6
	s_delay_alu instid0(VALU_DEP_4) | instskip(NEXT) | instid1(VALU_DEP_2)
	v_add3_u32 v4, v9, v13, v12
	v_add3_u32 v5, v3, v11, v2
	v_sub_co_u32 v2, vcc_lo, v6, v8
	s_delay_alu instid0(VALU_DEP_3) | instskip(SKIP_1) | instid1(VALU_DEP_4)
	v_sub_co_ci_u32_e32 v3, vcc_lo, v7, v4, vcc_lo
	v_mul_lo_u32 v6, v10, s5
	v_mul_lo_u32 v7, v5, s4
                                        ; implicit-def: $vgpr8
	s_delay_alu instid0(VALU_DEP_3) | instskip(NEXT) | instid1(VALU_DEP_1)
	v_mad_u64_u32 v[4:5], null, v10, s4, v[2:3]
	v_add3_u32 v5, v7, v5, v6
	s_delay_alu instid0(VALU_DEP_2) | instskip(NEXT) | instid1(VALU_DEP_2)
	v_cvt_f64_u32_e32 v[6:7], v4
	v_cvt_f64_u32_e32 v[2:3], v5
	v_cmp_lt_u64_e32 vcc_lo, 0x3fffffff, v[4:5]
                                        ; implicit-def: $vgpr4_vgpr5
	s_delay_alu instid0(VALU_DEP_2) | instskip(NEXT) | instid1(VALU_DEP_1)
	v_ldexp_f64 v[2:3], v[2:3], 32
	v_add_f64 v[2:3], v[2:3], v[6:7]
                                        ; implicit-def: $vgpr6_vgpr7
	s_and_saveexec_b32 s0, vcc_lo
	s_delay_alu instid0(SALU_CYCLE_1)
	s_xor_b32 s1, exec_lo, s0
	s_cbranch_execz .LBB36_11
; %bb.10:
	s_delay_alu instid0(VALU_DEP_1)
	v_trig_preop_f64 v[4:5], v[2:3], 0
	v_trig_preop_f64 v[6:7], v[2:3], 1
	;; [unrolled: 1-line block ×3, first 2 shown]
	v_mov_b32_e32 v24, 0
	s_mov_b32 s2, 0x54442d18
	s_mov_b32 s3, 0x3ff921fb
	;; [unrolled: 1-line block ×4, first 2 shown]
	s_delay_alu instid0(VALU_DEP_4) | instskip(NEXT) | instid1(VALU_DEP_4)
	v_mul_f64 v[8:9], v[4:5], v[2:3]
	v_mul_f64 v[10:11], v[6:7], v[2:3]
	s_delay_alu instid0(VALU_DEP_4) | instskip(NEXT) | instid1(VALU_DEP_3)
	v_mul_f64 v[22:23], v[16:17], v[2:3]
	v_fma_f64 v[4:5], v[4:5], v[2:3], -v[8:9]
	s_delay_alu instid0(VALU_DEP_3) | instskip(NEXT) | instid1(VALU_DEP_3)
	v_fma_f64 v[6:7], v[6:7], v[2:3], -v[10:11]
	v_fma_f64 v[16:17], v[16:17], v[2:3], -v[22:23]
	s_delay_alu instid0(VALU_DEP_3) | instskip(NEXT) | instid1(VALU_DEP_1)
	v_add_f64 v[12:13], v[10:11], v[4:5]
	v_add_f64 v[14:15], v[12:13], -v[10:11]
	v_add_f64 v[20:21], v[8:9], v[12:13]
	s_delay_alu instid0(VALU_DEP_2) | instskip(SKIP_1) | instid1(VALU_DEP_3)
	v_add_f64 v[18:19], v[12:13], -v[14:15]
	v_add_f64 v[4:5], v[4:5], -v[14:15]
	v_ldexp_f64 v[14:15], v[20:21], -2
	v_add_f64 v[8:9], v[20:21], -v[8:9]
	s_delay_alu instid0(VALU_DEP_4) | instskip(SKIP_1) | instid1(VALU_DEP_4)
	v_add_f64 v[10:11], v[10:11], -v[18:19]
	v_add_f64 v[18:19], v[22:23], v[6:7]
	v_cmp_neq_f64_e64 vcc_lo, 0x7ff00000, |v[14:15]|
	s_delay_alu instid0(VALU_DEP_4) | instskip(NEXT) | instid1(VALU_DEP_4)
	v_add_f64 v[8:9], v[12:13], -v[8:9]
	v_add_f64 v[4:5], v[4:5], v[10:11]
	v_fract_f64_e32 v[10:11], v[14:15]
	s_delay_alu instid0(VALU_DEP_2) | instskip(NEXT) | instid1(VALU_DEP_2)
	v_add_f64 v[12:13], v[18:19], v[4:5]
	v_dual_cndmask_b32 v11, 0, v11 :: v_dual_cndmask_b32 v10, 0, v10
	s_delay_alu instid0(VALU_DEP_1) | instskip(NEXT) | instid1(VALU_DEP_3)
	v_ldexp_f64 v[10:11], v[10:11], 2
	v_add_f64 v[14:15], v[8:9], v[12:13]
	s_delay_alu instid0(VALU_DEP_1) | instskip(SKIP_1) | instid1(VALU_DEP_2)
	v_add_f64 v[20:21], v[14:15], v[10:11]
	v_add_f64 v[8:9], v[14:15], -v[8:9]
	v_cmp_gt_f64_e32 vcc_lo, 0, v[20:21]
	v_add_f64 v[20:21], v[18:19], -v[22:23]
	s_delay_alu instid0(VALU_DEP_3) | instskip(SKIP_1) | instid1(VALU_DEP_3)
	v_add_f64 v[8:9], v[12:13], -v[8:9]
	v_cndmask_b32_e64 v25, 0, 0x40100000, vcc_lo
	v_add_f64 v[29:30], v[18:19], -v[20:21]
	v_add_f64 v[6:7], v[6:7], -v[20:21]
	s_delay_alu instid0(VALU_DEP_3) | instskip(SKIP_1) | instid1(VALU_DEP_4)
	v_add_f64 v[10:11], v[10:11], v[24:25]
	v_add_f64 v[25:26], v[12:13], -v[18:19]
	v_add_f64 v[20:21], v[22:23], -v[29:30]
	s_delay_alu instid0(VALU_DEP_3) | instskip(NEXT) | instid1(VALU_DEP_3)
	v_add_f64 v[27:28], v[14:15], v[10:11]
	v_add_f64 v[31:32], v[12:13], -v[25:26]
	v_add_f64 v[4:5], v[4:5], -v[25:26]
	s_delay_alu instid0(VALU_DEP_4) | instskip(NEXT) | instid1(VALU_DEP_4)
	v_add_f64 v[6:7], v[6:7], v[20:21]
	v_cvt_i32_f64_e32 v27, v[27:28]
	s_delay_alu instid0(VALU_DEP_4) | instskip(NEXT) | instid1(VALU_DEP_2)
	v_add_f64 v[18:19], v[18:19], -v[31:32]
	v_cvt_f64_i32_e32 v[25:26], v27
	s_delay_alu instid0(VALU_DEP_2) | instskip(NEXT) | instid1(VALU_DEP_2)
	v_add_f64 v[4:5], v[4:5], v[18:19]
	v_add_f64 v[10:11], v[10:11], -v[25:26]
	s_delay_alu instid0(VALU_DEP_2) | instskip(NEXT) | instid1(VALU_DEP_2)
	v_add_f64 v[4:5], v[6:7], v[4:5]
	v_add_f64 v[6:7], v[14:15], v[10:11]
	s_delay_alu instid0(VALU_DEP_2) | instskip(NEXT) | instid1(VALU_DEP_2)
	v_add_f64 v[4:5], v[16:17], v[4:5]
	v_add_f64 v[10:11], v[6:7], -v[10:11]
	v_cmp_le_f64_e32 vcc_lo, 0.5, v[6:7]
	s_delay_alu instid0(VALU_DEP_3) | instskip(NEXT) | instid1(VALU_DEP_3)
	v_add_f64 v[4:5], v[8:9], v[4:5]
	v_add_f64 v[9:10], v[14:15], -v[10:11]
	v_cndmask_b32_e64 v25, 0, 0x3ff00000, vcc_lo
	v_add_co_ci_u32_e64 v8, s0, 0, v27, vcc_lo
	s_delay_alu instid0(VALU_DEP_2) | instskip(NEXT) | instid1(VALU_DEP_4)
	v_add_f64 v[6:7], v[6:7], -v[24:25]
	v_add_f64 v[4:5], v[4:5], v[9:10]
	s_delay_alu instid0(VALU_DEP_1) | instskip(NEXT) | instid1(VALU_DEP_1)
	v_add_f64 v[9:10], v[6:7], v[4:5]
	v_mul_f64 v[11:12], v[9:10], s[2:3]
	v_add_f64 v[6:7], v[9:10], -v[6:7]
	s_delay_alu instid0(VALU_DEP_2) | instskip(NEXT) | instid1(VALU_DEP_2)
	v_fma_f64 v[13:14], v[9:10], s[2:3], -v[11:12]
	v_add_f64 v[4:5], v[4:5], -v[6:7]
	s_delay_alu instid0(VALU_DEP_2) | instskip(NEXT) | instid1(VALU_DEP_1)
	v_fma_f64 v[6:7], v[9:10], s[4:5], v[13:14]
	v_fma_f64 v[6:7], v[4:5], s[2:3], v[6:7]
	s_delay_alu instid0(VALU_DEP_1) | instskip(NEXT) | instid1(VALU_DEP_1)
	v_add_f64 v[4:5], v[11:12], v[6:7]
	v_add_f64 v[9:10], v[4:5], -v[11:12]
	s_delay_alu instid0(VALU_DEP_1)
	v_add_f64 v[6:7], v[6:7], -v[9:10]
.LBB36_11:
	s_and_not1_saveexec_b32 s0, s1
	s_cbranch_execz .LBB36_13
; %bb.12:
	s_mov_b32 s2, 0x6dc9c883
	s_mov_b32 s3, 0x3fe45f30
	;; [unrolled: 1-line block ×3, first 2 shown]
	s_delay_alu instid0(VALU_DEP_1) | instskip(SKIP_3) | instid1(VALU_DEP_1)
	v_mul_f64 v[4:5], v[2:3], s[2:3]
	s_mov_b32 s2, 0x54442d18
	s_mov_b32 s3, 0xbff921fb
	s_mov_b32 s4, 0x33145c00
	v_rndne_f64_e32 v[8:9], v[4:5]
	s_delay_alu instid0(VALU_DEP_1) | instskip(SKIP_3) | instid1(VALU_DEP_2)
	v_fma_f64 v[4:5], v[8:9], s[2:3], v[2:3]
	v_mul_f64 v[6:7], v[8:9], s[4:5]
	s_mov_b32 s2, 0x252049c0
	s_mov_b32 s3, 0xb97b839a
	v_fma_f64 v[12:13], v[8:9], s[4:5], v[4:5]
	s_delay_alu instid0(VALU_DEP_2) | instskip(SKIP_1) | instid1(VALU_DEP_1)
	v_add_f64 v[10:11], v[4:5], v[6:7]
	s_mov_b32 s5, 0x3c91a626
	v_add_f64 v[4:5], v[4:5], -v[10:11]
	s_delay_alu instid0(VALU_DEP_3) | instskip(NEXT) | instid1(VALU_DEP_2)
	v_add_f64 v[10:11], v[10:11], -v[12:13]
	v_add_f64 v[4:5], v[4:5], v[6:7]
	v_fma_f64 v[6:7], v[8:9], s[4:5], v[6:7]
	s_delay_alu instid0(VALU_DEP_2) | instskip(NEXT) | instid1(VALU_DEP_1)
	v_add_f64 v[4:5], v[10:11], v[4:5]
	v_add_f64 v[4:5], v[4:5], -v[6:7]
	s_delay_alu instid0(VALU_DEP_1) | instskip(SKIP_1) | instid1(VALU_DEP_2)
	v_fma_f64 v[6:7], v[8:9], s[2:3], v[4:5]
	v_cvt_i32_f64_e32 v8, v[8:9]
	v_add_f64 v[4:5], v[12:13], v[6:7]
	s_delay_alu instid0(VALU_DEP_1) | instskip(NEXT) | instid1(VALU_DEP_1)
	v_add_f64 v[10:11], v[4:5], -v[12:13]
	v_add_f64 v[6:7], v[6:7], -v[10:11]
.LBB36_13:
	s_or_b32 exec_lo, exec_lo, s0
	v_mul_f64 v[9:10], v[4:5], v[4:5]
	s_mov_b32 s0, 0xb42fdfa7
	s_mov_b32 s2, 0xf9a43bb8
	;; [unrolled: 1-line block ×6, first 2 shown]
	s_delay_alu instid0(VALU_DEP_2) | instskip(SKIP_1) | instid1(VALU_DEP_1)
	v_mul_f64 v[19:20], v[6:7], 0.5
	v_and_b32_e32 v2, 1, v8
	v_cmp_eq_u32_e32 vcc_lo, 0, v2
	s_delay_alu instid0(VALU_DEP_4)
	v_fma_f64 v[11:12], v[9:10], s[2:3], s[0:1]
	s_mov_b32 s0, 0x9037ab78
	s_mov_b32 s2, 0x46cc5e42
	;; [unrolled: 1-line block ×4, first 2 shown]
	v_mul_f64 v[15:16], v[9:10], 0.5
	v_fma_f64 v[13:14], v[9:10], s[2:3], s[0:1]
	s_mov_b32 s0, 0xa17f65f6
	s_mov_b32 s2, 0x19e83e5c
	;; [unrolled: 1-line block ×4, first 2 shown]
	v_mul_f64 v[21:22], v[4:5], -v[9:10]
	s_delay_alu instid0(VALU_DEP_4) | instskip(NEXT) | instid1(VALU_DEP_4)
	v_fma_f64 v[11:12], v[9:10], v[11:12], s[4:5]
	v_add_f64 v[17:18], -v[15:16], 1.0
	s_delay_alu instid0(VALU_DEP_4) | instskip(SKIP_2) | instid1(VALU_DEP_3)
	v_fma_f64 v[13:14], v[9:10], v[13:14], s[0:1]
	s_mov_b32 s0, 0x19f4ec90
	s_mov_b32 s1, 0x3efa01a0
	v_fma_f64 v[11:12], v[9:10], v[11:12], s[2:3]
	s_mov_b32 s2, 0x11110bb3
	s_mov_b32 s3, 0x3f811111
	s_delay_alu instid0(VALU_DEP_3) | instskip(NEXT) | instid1(VALU_DEP_3)
	v_add_f64 v[23:24], -v[17:18], 1.0
	v_fma_f64 v[13:14], v[9:10], v[13:14], s[0:1]
	s_mov_b32 s0, 0x16c16967
	s_mov_b32 s1, 0xbf56c16c
	s_delay_alu instid0(VALU_DEP_3) | instskip(NEXT) | instid1(VALU_DEP_3)
	v_fma_f64 v[11:12], v[9:10], v[11:12], s[2:3]
	v_add_f64 v[15:16], v[23:24], -v[15:16]
	s_delay_alu instid0(VALU_DEP_3) | instskip(SKIP_2) | instid1(VALU_DEP_3)
	v_fma_f64 v[13:14], v[9:10], v[13:14], s[0:1]
	s_mov_b32 s1, 0x3fa55555
	s_mov_b32 s0, 0x55555555
	v_fma_f64 v[11:12], v[21:22], v[11:12], v[19:20]
	v_mul_f64 v[19:20], v[9:10], v[9:10]
	s_delay_alu instid0(VALU_DEP_4) | instskip(NEXT) | instid1(VALU_DEP_4)
	v_fma_f64 v[15:16], v[4:5], -v[6:7], v[15:16]
	v_fma_f64 v[13:14], v[9:10], v[13:14], s[0:1]
	s_mov_b32 s1, 0xbfc55555
	s_delay_alu instid0(VALU_DEP_4) | instskip(NEXT) | instid1(VALU_DEP_2)
	v_fma_f64 v[6:7], v[9:10], v[11:12], -v[6:7]
	v_fma_f64 v[9:10], v[19:20], v[13:14], v[15:16]
	s_delay_alu instid0(VALU_DEP_2) | instskip(NEXT) | instid1(VALU_DEP_2)
	v_fma_f64 v[6:7], v[21:22], s[0:1], v[6:7]
	v_add_f64 v[9:10], v[17:18], v[9:10]
	s_delay_alu instid0(VALU_DEP_2) | instskip(SKIP_1) | instid1(VALU_DEP_1)
	v_add_f64 v[4:5], v[4:5], -v[6:7]
	v_lshlrev_b32_e32 v6, 30, v8
	v_xor_b32_e32 v3, v6, v3
	s_delay_alu instid0(VALU_DEP_1) | instskip(NEXT) | instid1(VALU_DEP_4)
	v_dual_cndmask_b32 v2, v9, v4 :: v_dual_and_b32 v3, 0x80000000, v3
	v_cndmask_b32_e32 v4, v10, v5, vcc_lo
	s_delay_alu instid0(VALU_DEP_1) | instskip(NEXT) | instid1(VALU_DEP_1)
	v_xor_b32_e32 v3, v4, v3
	v_cvt_f32_f64_e32 v3, v[2:3]
	s_delay_alu instid0(VALU_DEP_1) | instskip(NEXT) | instid1(VALU_DEP_1)
	v_and_b32_e32 v2, 0x7f800000, v3
	v_cmp_ne_u32_e32 vcc_lo, 0x7f800000, v2
                                        ; implicit-def: $vgpr2
	s_and_saveexec_b32 s0, vcc_lo
	s_delay_alu instid0(SALU_CYCLE_1)
	s_xor_b32 s0, exec_lo, s0
; %bb.14:
	v_bfe_u32 v2, v3, 16, 1
	s_delay_alu instid0(VALU_DEP_1)
	v_add3_u32 v2, v3, v2, 0x7fff
                                        ; implicit-def: $vgpr3
; %bb.15:
	s_and_not1_saveexec_b32 s0, s0
; %bb.16:
	v_and_b32_e32 v2, 0xffff, v3
	v_or_b32_e32 v4, 0x10000, v3
	s_delay_alu instid0(VALU_DEP_2) | instskip(NEXT) | instid1(VALU_DEP_2)
	v_cmp_eq_u32_e32 vcc_lo, 0, v2
	v_cndmask_b32_e32 v2, v4, v3, vcc_lo
; %bb.17:
	s_or_b32 exec_lo, exec_lo, s0
	v_lshlrev_b64 v[0:1], 1, v[0:1]
	s_delay_alu instid0(VALU_DEP_1) | instskip(NEXT) | instid1(VALU_DEP_2)
	v_add_co_u32 v0, vcc_lo, s16, v0
	v_add_co_ci_u32_e32 v1, vcc_lo, s17, v1, vcc_lo
	global_store_d16_hi_b16 v[0:1], v2, off
.LBB36_18:
	s_nop 0
	s_sendmsg sendmsg(MSG_DEALLOC_VGPRS)
	s_endpgm
	.section	.rodata,"a",@progbits
	.p2align	6, 0x0
	.amdhsa_kernel _Z11fill_kernelI12hip_bfloat16Z21hipblaslt_init_deviceIS0_Ev8ABC_dims24hipblaslt_initializationbPT_mmmmmEUlmE2_EvS5_mmT0_
		.amdhsa_group_segment_fixed_size 0
		.amdhsa_private_segment_fixed_size 0
		.amdhsa_kernarg_size 312
		.amdhsa_user_sgpr_count 15
		.amdhsa_user_sgpr_dispatch_ptr 0
		.amdhsa_user_sgpr_queue_ptr 0
		.amdhsa_user_sgpr_kernarg_segment_ptr 1
		.amdhsa_user_sgpr_dispatch_id 0
		.amdhsa_user_sgpr_private_segment_size 0
		.amdhsa_wavefront_size32 1
		.amdhsa_uses_dynamic_stack 0
		.amdhsa_enable_private_segment 0
		.amdhsa_system_sgpr_workgroup_id_x 1
		.amdhsa_system_sgpr_workgroup_id_y 0
		.amdhsa_system_sgpr_workgroup_id_z 0
		.amdhsa_system_sgpr_workgroup_info 0
		.amdhsa_system_vgpr_workitem_id 0
		.amdhsa_next_free_vgpr 33
		.amdhsa_next_free_sgpr 20
		.amdhsa_reserve_vcc 1
		.amdhsa_float_round_mode_32 0
		.amdhsa_float_round_mode_16_64 0
		.amdhsa_float_denorm_mode_32 3
		.amdhsa_float_denorm_mode_16_64 3
		.amdhsa_dx10_clamp 1
		.amdhsa_ieee_mode 1
		.amdhsa_fp16_overflow 0
		.amdhsa_workgroup_processor_mode 1
		.amdhsa_memory_ordered 1
		.amdhsa_forward_progress 0
		.amdhsa_shared_vgpr_count 0
		.amdhsa_exception_fp_ieee_invalid_op 0
		.amdhsa_exception_fp_denorm_src 0
		.amdhsa_exception_fp_ieee_div_zero 0
		.amdhsa_exception_fp_ieee_overflow 0
		.amdhsa_exception_fp_ieee_underflow 0
		.amdhsa_exception_fp_ieee_inexact 0
		.amdhsa_exception_int_div_zero 0
	.end_amdhsa_kernel
	.section	.text._Z11fill_kernelI12hip_bfloat16Z21hipblaslt_init_deviceIS0_Ev8ABC_dims24hipblaslt_initializationbPT_mmmmmEUlmE2_EvS5_mmT0_,"axG",@progbits,_Z11fill_kernelI12hip_bfloat16Z21hipblaslt_init_deviceIS0_Ev8ABC_dims24hipblaslt_initializationbPT_mmmmmEUlmE2_EvS5_mmT0_,comdat
.Lfunc_end36:
	.size	_Z11fill_kernelI12hip_bfloat16Z21hipblaslt_init_deviceIS0_Ev8ABC_dims24hipblaslt_initializationbPT_mmmmmEUlmE2_EvS5_mmT0_, .Lfunc_end36-_Z11fill_kernelI12hip_bfloat16Z21hipblaslt_init_deviceIS0_Ev8ABC_dims24hipblaslt_initializationbPT_mmmmmEUlmE2_EvS5_mmT0_
                                        ; -- End function
	.section	.AMDGPU.csdata,"",@progbits
; Kernel info:
; codeLenInByte = 3668
; NumSgprs: 22
; NumVgprs: 33
; ScratchSize: 0
; MemoryBound: 0
; FloatMode: 240
; IeeeMode: 1
; LDSByteSize: 0 bytes/workgroup (compile time only)
; SGPRBlocks: 2
; VGPRBlocks: 4
; NumSGPRsForWavesPerEU: 22
; NumVGPRsForWavesPerEU: 33
; Occupancy: 16
; WaveLimiterHint : 0
; COMPUTE_PGM_RSRC2:SCRATCH_EN: 0
; COMPUTE_PGM_RSRC2:USER_SGPR: 15
; COMPUTE_PGM_RSRC2:TRAP_HANDLER: 0
; COMPUTE_PGM_RSRC2:TGID_X_EN: 1
; COMPUTE_PGM_RSRC2:TGID_Y_EN: 0
; COMPUTE_PGM_RSRC2:TGID_Z_EN: 0
; COMPUTE_PGM_RSRC2:TIDIG_COMP_CNT: 0
	.section	.text._Z11fill_kernelI12hip_bfloat16Z21hipblaslt_init_deviceIS0_Ev8ABC_dims24hipblaslt_initializationbPT_mmmmmEUlmE3_EvS5_mmT0_,"axG",@progbits,_Z11fill_kernelI12hip_bfloat16Z21hipblaslt_init_deviceIS0_Ev8ABC_dims24hipblaslt_initializationbPT_mmmmmEUlmE3_EvS5_mmT0_,comdat
	.protected	_Z11fill_kernelI12hip_bfloat16Z21hipblaslt_init_deviceIS0_Ev8ABC_dims24hipblaslt_initializationbPT_mmmmmEUlmE3_EvS5_mmT0_ ; -- Begin function _Z11fill_kernelI12hip_bfloat16Z21hipblaslt_init_deviceIS0_Ev8ABC_dims24hipblaslt_initializationbPT_mmmmmEUlmE3_EvS5_mmT0_
	.globl	_Z11fill_kernelI12hip_bfloat16Z21hipblaslt_init_deviceIS0_Ev8ABC_dims24hipblaslt_initializationbPT_mmmmmEUlmE3_EvS5_mmT0_
	.p2align	8
	.type	_Z11fill_kernelI12hip_bfloat16Z21hipblaslt_init_deviceIS0_Ev8ABC_dims24hipblaslt_initializationbPT_mmmmmEUlmE3_EvS5_mmT0_,@function
_Z11fill_kernelI12hip_bfloat16Z21hipblaslt_init_deviceIS0_Ev8ABC_dims24hipblaslt_initializationbPT_mmmmmEUlmE3_EvS5_mmT0_: ; @_Z11fill_kernelI12hip_bfloat16Z21hipblaslt_init_deviceIS0_Ev8ABC_dims24hipblaslt_initializationbPT_mmmmmEUlmE3_EvS5_mmT0_
; %bb.0:
	s_clause 0x1
	s_load_b32 s2, s[0:1], 0x44
	s_load_b128 s[16:19], s[0:1], 0x0
	s_waitcnt lgkmcnt(0)
	s_and_b32 s2, s2, 0xffff
	s_delay_alu instid0(SALU_CYCLE_1) | instskip(SKIP_2) | instid1(VALU_DEP_1)
	v_mad_u64_u32 v[1:2], null, s15, s2, v[0:1]
	v_mov_b32_e32 v2, 0
	s_mov_b32 s2, exec_lo
	v_cmpx_gt_u64_e64 s[18:19], v[1:2]
	s_cbranch_execz .LBB37_18
; %bb.1:
	s_clause 0x1
	s_load_b64 s[2:3], s[0:1], 0x10
	s_load_b256 s[4:11], s[0:1], 0x18
	s_waitcnt lgkmcnt(0)
	v_add_co_u32 v0, s0, v1, s2
	s_delay_alu instid0(VALU_DEP_1) | instskip(NEXT) | instid1(VALU_DEP_1)
	v_add_co_ci_u32_e64 v1, null, 0, s3, s0
	v_or_b32_e32 v3, s9, v1
	s_delay_alu instid0(VALU_DEP_1) | instskip(SKIP_1) | instid1(SALU_CYCLE_1)
	v_cmp_ne_u64_e32 vcc_lo, 0, v[2:3]
                                        ; implicit-def: $vgpr2_vgpr3
	s_and_saveexec_b32 s0, vcc_lo
	s_xor_b32 s1, exec_lo, s0
	s_cbranch_execz .LBB37_3
; %bb.2:
	v_cvt_f32_u32_e32 v2, s8
	v_cvt_f32_u32_e32 v3, s9
	s_sub_u32 s0, 0, s8
	s_subb_u32 s2, 0, s9
	s_delay_alu instid0(VALU_DEP_1) | instskip(NEXT) | instid1(VALU_DEP_1)
	v_fmamk_f32 v2, v3, 0x4f800000, v2
	v_rcp_f32_e32 v2, v2
	s_waitcnt_depctr 0xfff
	v_mul_f32_e32 v2, 0x5f7ffffc, v2
	s_delay_alu instid0(VALU_DEP_1) | instskip(NEXT) | instid1(VALU_DEP_1)
	v_mul_f32_e32 v3, 0x2f800000, v2
	v_trunc_f32_e32 v3, v3
	s_delay_alu instid0(VALU_DEP_1) | instskip(SKIP_1) | instid1(VALU_DEP_2)
	v_fmamk_f32 v2, v3, 0xcf800000, v2
	v_cvt_u32_f32_e32 v3, v3
	v_cvt_u32_f32_e32 v2, v2
	s_delay_alu instid0(VALU_DEP_2) | instskip(NEXT) | instid1(VALU_DEP_2)
	v_mul_lo_u32 v4, s0, v3
	v_mul_hi_u32 v5, s0, v2
	v_mul_lo_u32 v6, s2, v2
	s_delay_alu instid0(VALU_DEP_2) | instskip(SKIP_1) | instid1(VALU_DEP_2)
	v_add_nc_u32_e32 v4, v5, v4
	v_mul_lo_u32 v5, s0, v2
	v_add_nc_u32_e32 v4, v4, v6
	s_delay_alu instid0(VALU_DEP_2) | instskip(NEXT) | instid1(VALU_DEP_2)
	v_mul_hi_u32 v6, v2, v5
	v_mul_lo_u32 v7, v2, v4
	v_mul_hi_u32 v8, v2, v4
	v_mul_hi_u32 v9, v3, v5
	v_mul_lo_u32 v5, v3, v5
	v_mul_hi_u32 v10, v3, v4
	v_mul_lo_u32 v4, v3, v4
	v_add_co_u32 v6, vcc_lo, v6, v7
	v_add_co_ci_u32_e32 v7, vcc_lo, 0, v8, vcc_lo
	s_delay_alu instid0(VALU_DEP_2) | instskip(NEXT) | instid1(VALU_DEP_2)
	v_add_co_u32 v5, vcc_lo, v6, v5
	v_add_co_ci_u32_e32 v5, vcc_lo, v7, v9, vcc_lo
	v_add_co_ci_u32_e32 v6, vcc_lo, 0, v10, vcc_lo
	s_delay_alu instid0(VALU_DEP_2) | instskip(NEXT) | instid1(VALU_DEP_2)
	v_add_co_u32 v4, vcc_lo, v5, v4
	v_add_co_ci_u32_e32 v5, vcc_lo, 0, v6, vcc_lo
	s_delay_alu instid0(VALU_DEP_2) | instskip(NEXT) | instid1(VALU_DEP_2)
	v_add_co_u32 v2, vcc_lo, v2, v4
	v_add_co_ci_u32_e32 v3, vcc_lo, v3, v5, vcc_lo
	s_delay_alu instid0(VALU_DEP_2) | instskip(SKIP_1) | instid1(VALU_DEP_3)
	v_mul_hi_u32 v4, s0, v2
	v_mul_lo_u32 v6, s2, v2
	v_mul_lo_u32 v5, s0, v3
	s_delay_alu instid0(VALU_DEP_1) | instskip(SKIP_1) | instid1(VALU_DEP_2)
	v_add_nc_u32_e32 v4, v4, v5
	v_mul_lo_u32 v5, s0, v2
	v_add_nc_u32_e32 v4, v4, v6
	s_delay_alu instid0(VALU_DEP_2) | instskip(NEXT) | instid1(VALU_DEP_2)
	v_mul_hi_u32 v6, v2, v5
	v_mul_lo_u32 v7, v2, v4
	v_mul_hi_u32 v8, v2, v4
	v_mul_hi_u32 v9, v3, v5
	v_mul_lo_u32 v5, v3, v5
	v_mul_hi_u32 v10, v3, v4
	v_mul_lo_u32 v4, v3, v4
	v_add_co_u32 v6, vcc_lo, v6, v7
	v_add_co_ci_u32_e32 v7, vcc_lo, 0, v8, vcc_lo
	s_delay_alu instid0(VALU_DEP_2) | instskip(NEXT) | instid1(VALU_DEP_2)
	v_add_co_u32 v5, vcc_lo, v6, v5
	v_add_co_ci_u32_e32 v5, vcc_lo, v7, v9, vcc_lo
	v_add_co_ci_u32_e32 v6, vcc_lo, 0, v10, vcc_lo
	s_delay_alu instid0(VALU_DEP_2) | instskip(NEXT) | instid1(VALU_DEP_2)
	v_add_co_u32 v4, vcc_lo, v5, v4
	v_add_co_ci_u32_e32 v5, vcc_lo, 0, v6, vcc_lo
	s_delay_alu instid0(VALU_DEP_2) | instskip(NEXT) | instid1(VALU_DEP_2)
	v_add_co_u32 v6, vcc_lo, v2, v4
	v_add_co_ci_u32_e32 v8, vcc_lo, v3, v5, vcc_lo
	s_delay_alu instid0(VALU_DEP_2) | instskip(SKIP_1) | instid1(VALU_DEP_3)
	v_mul_hi_u32 v9, v0, v6
	v_mad_u64_u32 v[4:5], null, v1, v6, 0
	v_mad_u64_u32 v[2:3], null, v0, v8, 0
	;; [unrolled: 1-line block ×3, first 2 shown]
	s_delay_alu instid0(VALU_DEP_2) | instskip(NEXT) | instid1(VALU_DEP_3)
	v_add_co_u32 v2, vcc_lo, v9, v2
	v_add_co_ci_u32_e32 v3, vcc_lo, 0, v3, vcc_lo
	s_delay_alu instid0(VALU_DEP_2) | instskip(NEXT) | instid1(VALU_DEP_2)
	v_add_co_u32 v2, vcc_lo, v2, v4
	v_add_co_ci_u32_e32 v2, vcc_lo, v3, v5, vcc_lo
	v_add_co_ci_u32_e32 v3, vcc_lo, 0, v7, vcc_lo
	s_delay_alu instid0(VALU_DEP_2) | instskip(NEXT) | instid1(VALU_DEP_2)
	v_add_co_u32 v4, vcc_lo, v2, v6
	v_add_co_ci_u32_e32 v5, vcc_lo, 0, v3, vcc_lo
	s_delay_alu instid0(VALU_DEP_2) | instskip(SKIP_1) | instid1(VALU_DEP_3)
	v_mul_lo_u32 v6, s9, v4
	v_mad_u64_u32 v[2:3], null, s8, v4, 0
	v_mul_lo_u32 v7, s8, v5
	s_delay_alu instid0(VALU_DEP_2) | instskip(NEXT) | instid1(VALU_DEP_2)
	v_sub_co_u32 v2, vcc_lo, v0, v2
	v_add3_u32 v3, v3, v7, v6
	s_delay_alu instid0(VALU_DEP_1) | instskip(NEXT) | instid1(VALU_DEP_1)
	v_sub_nc_u32_e32 v6, v1, v3
	v_subrev_co_ci_u32_e64 v6, s0, s9, v6, vcc_lo
	v_add_co_u32 v7, s0, v4, 2
	s_delay_alu instid0(VALU_DEP_1) | instskip(SKIP_3) | instid1(VALU_DEP_3)
	v_add_co_ci_u32_e64 v8, s0, 0, v5, s0
	v_sub_co_u32 v9, s0, v2, s8
	v_sub_co_ci_u32_e32 v3, vcc_lo, v1, v3, vcc_lo
	v_subrev_co_ci_u32_e64 v6, s0, 0, v6, s0
	v_cmp_le_u32_e32 vcc_lo, s8, v9
	s_delay_alu instid0(VALU_DEP_3) | instskip(SKIP_1) | instid1(VALU_DEP_4)
	v_cmp_eq_u32_e64 s0, s9, v3
	v_cndmask_b32_e64 v9, 0, -1, vcc_lo
	v_cmp_le_u32_e32 vcc_lo, s9, v6
	v_cndmask_b32_e64 v10, 0, -1, vcc_lo
	v_cmp_le_u32_e32 vcc_lo, s8, v2
	v_cndmask_b32_e64 v2, 0, -1, vcc_lo
	v_cmp_le_u32_e32 vcc_lo, s9, v3
	v_cndmask_b32_e64 v11, 0, -1, vcc_lo
	v_cmp_eq_u32_e32 vcc_lo, s9, v6
	s_delay_alu instid0(VALU_DEP_2) | instskip(SKIP_3) | instid1(VALU_DEP_3)
	v_cndmask_b32_e64 v2, v11, v2, s0
	v_cndmask_b32_e32 v6, v10, v9, vcc_lo
	v_add_co_u32 v9, vcc_lo, v4, 1
	v_add_co_ci_u32_e32 v10, vcc_lo, 0, v5, vcc_lo
	v_cmp_ne_u32_e32 vcc_lo, 0, v6
	s_delay_alu instid0(VALU_DEP_2) | instskip(SKIP_1) | instid1(VALU_DEP_2)
	v_dual_cndmask_b32 v3, v10, v8 :: v_dual_cndmask_b32 v6, v9, v7
	v_cmp_ne_u32_e32 vcc_lo, 0, v2
	v_dual_cndmask_b32 v3, v5, v3 :: v_dual_cndmask_b32 v2, v4, v6
.LBB37_3:
	s_and_not1_saveexec_b32 s0, s1
	s_cbranch_execz .LBB37_5
; %bb.4:
	v_cvt_f32_u32_e32 v2, s8
	s_sub_i32 s1, 0, s8
	s_delay_alu instid0(VALU_DEP_1) | instskip(SKIP_2) | instid1(VALU_DEP_1)
	v_rcp_iflag_f32_e32 v2, v2
	s_waitcnt_depctr 0xfff
	v_mul_f32_e32 v2, 0x4f7ffffe, v2
	v_cvt_u32_f32_e32 v2, v2
	s_delay_alu instid0(VALU_DEP_1) | instskip(NEXT) | instid1(VALU_DEP_1)
	v_mul_lo_u32 v3, s1, v2
	v_mul_hi_u32 v3, v2, v3
	s_delay_alu instid0(VALU_DEP_1) | instskip(NEXT) | instid1(VALU_DEP_1)
	v_add_nc_u32_e32 v2, v2, v3
	v_mul_hi_u32 v2, v0, v2
	s_delay_alu instid0(VALU_DEP_1) | instskip(SKIP_1) | instid1(VALU_DEP_2)
	v_mul_lo_u32 v3, v2, s8
	v_add_nc_u32_e32 v4, 1, v2
	v_sub_nc_u32_e32 v3, v0, v3
	s_delay_alu instid0(VALU_DEP_1) | instskip(SKIP_1) | instid1(VALU_DEP_2)
	v_subrev_nc_u32_e32 v5, s8, v3
	v_cmp_le_u32_e32 vcc_lo, s8, v3
	v_dual_cndmask_b32 v3, v3, v5 :: v_dual_cndmask_b32 v2, v2, v4
	s_delay_alu instid0(VALU_DEP_1) | instskip(NEXT) | instid1(VALU_DEP_2)
	v_cmp_le_u32_e32 vcc_lo, s8, v3
	v_dual_mov_b32 v3, 0 :: v_dual_add_nc_u32 v4, 1, v2
	s_delay_alu instid0(VALU_DEP_1)
	v_cndmask_b32_e32 v2, v2, v4, vcc_lo
.LBB37_5:
	s_or_b32 exec_lo, exec_lo, s0
	s_delay_alu instid0(VALU_DEP_1) | instskip(NEXT) | instid1(VALU_DEP_2)
	v_mul_lo_u32 v6, v3, s8
	v_mul_lo_u32 v7, v2, s9
	v_mad_u64_u32 v[4:5], null, v2, s8, 0
	s_delay_alu instid0(VALU_DEP_1) | instskip(NEXT) | instid1(VALU_DEP_2)
	v_add3_u32 v5, v5, v7, v6
	v_sub_co_u32 v6, vcc_lo, v0, v4
	v_mov_b32_e32 v4, 0
	s_delay_alu instid0(VALU_DEP_3) | instskip(NEXT) | instid1(VALU_DEP_1)
	v_sub_co_ci_u32_e32 v7, vcc_lo, v1, v5, vcc_lo
	v_or_b32_e32 v5, s11, v7
	s_delay_alu instid0(VALU_DEP_1) | instskip(SKIP_1) | instid1(SALU_CYCLE_1)
	v_cmp_ne_u64_e32 vcc_lo, 0, v[4:5]
                                        ; implicit-def: $vgpr4_vgpr5
	s_and_saveexec_b32 s0, vcc_lo
	s_xor_b32 s1, exec_lo, s0
	s_cbranch_execz .LBB37_7
; %bb.6:
	v_cvt_f32_u32_e32 v4, s10
	v_cvt_f32_u32_e32 v5, s11
	s_sub_u32 s0, 0, s10
	s_subb_u32 s2, 0, s11
	s_delay_alu instid0(VALU_DEP_1) | instskip(NEXT) | instid1(VALU_DEP_1)
	v_fmamk_f32 v4, v5, 0x4f800000, v4
	v_rcp_f32_e32 v4, v4
	s_waitcnt_depctr 0xfff
	v_mul_f32_e32 v4, 0x5f7ffffc, v4
	s_delay_alu instid0(VALU_DEP_1) | instskip(NEXT) | instid1(VALU_DEP_1)
	v_mul_f32_e32 v5, 0x2f800000, v4
	v_trunc_f32_e32 v5, v5
	s_delay_alu instid0(VALU_DEP_1) | instskip(SKIP_1) | instid1(VALU_DEP_2)
	v_fmamk_f32 v4, v5, 0xcf800000, v4
	v_cvt_u32_f32_e32 v5, v5
	v_cvt_u32_f32_e32 v4, v4
	s_delay_alu instid0(VALU_DEP_2) | instskip(NEXT) | instid1(VALU_DEP_2)
	v_mul_lo_u32 v8, s0, v5
	v_mul_hi_u32 v9, s0, v4
	v_mul_lo_u32 v10, s2, v4
	s_delay_alu instid0(VALU_DEP_2) | instskip(SKIP_1) | instid1(VALU_DEP_2)
	v_add_nc_u32_e32 v8, v9, v8
	v_mul_lo_u32 v9, s0, v4
	v_add_nc_u32_e32 v8, v8, v10
	s_delay_alu instid0(VALU_DEP_2) | instskip(NEXT) | instid1(VALU_DEP_2)
	v_mul_hi_u32 v10, v4, v9
	v_mul_lo_u32 v11, v4, v8
	v_mul_hi_u32 v12, v4, v8
	v_mul_hi_u32 v13, v5, v9
	v_mul_lo_u32 v9, v5, v9
	v_mul_hi_u32 v14, v5, v8
	v_mul_lo_u32 v8, v5, v8
	v_add_co_u32 v10, vcc_lo, v10, v11
	v_add_co_ci_u32_e32 v11, vcc_lo, 0, v12, vcc_lo
	s_delay_alu instid0(VALU_DEP_2) | instskip(NEXT) | instid1(VALU_DEP_2)
	v_add_co_u32 v9, vcc_lo, v10, v9
	v_add_co_ci_u32_e32 v9, vcc_lo, v11, v13, vcc_lo
	v_add_co_ci_u32_e32 v10, vcc_lo, 0, v14, vcc_lo
	s_delay_alu instid0(VALU_DEP_2) | instskip(NEXT) | instid1(VALU_DEP_2)
	v_add_co_u32 v8, vcc_lo, v9, v8
	v_add_co_ci_u32_e32 v9, vcc_lo, 0, v10, vcc_lo
	s_delay_alu instid0(VALU_DEP_2) | instskip(NEXT) | instid1(VALU_DEP_2)
	v_add_co_u32 v4, vcc_lo, v4, v8
	v_add_co_ci_u32_e32 v5, vcc_lo, v5, v9, vcc_lo
	s_delay_alu instid0(VALU_DEP_2) | instskip(SKIP_1) | instid1(VALU_DEP_3)
	v_mul_hi_u32 v8, s0, v4
	v_mul_lo_u32 v10, s2, v4
	v_mul_lo_u32 v9, s0, v5
	s_delay_alu instid0(VALU_DEP_1) | instskip(SKIP_1) | instid1(VALU_DEP_2)
	v_add_nc_u32_e32 v8, v8, v9
	v_mul_lo_u32 v9, s0, v4
	v_add_nc_u32_e32 v8, v8, v10
	s_delay_alu instid0(VALU_DEP_2) | instskip(NEXT) | instid1(VALU_DEP_2)
	v_mul_hi_u32 v10, v4, v9
	v_mul_lo_u32 v11, v4, v8
	v_mul_hi_u32 v12, v4, v8
	v_mul_hi_u32 v13, v5, v9
	v_mul_lo_u32 v9, v5, v9
	v_mul_hi_u32 v14, v5, v8
	v_mul_lo_u32 v8, v5, v8
	v_add_co_u32 v10, vcc_lo, v10, v11
	v_add_co_ci_u32_e32 v11, vcc_lo, 0, v12, vcc_lo
	s_delay_alu instid0(VALU_DEP_2) | instskip(NEXT) | instid1(VALU_DEP_2)
	v_add_co_u32 v9, vcc_lo, v10, v9
	v_add_co_ci_u32_e32 v9, vcc_lo, v11, v13, vcc_lo
	v_add_co_ci_u32_e32 v10, vcc_lo, 0, v14, vcc_lo
	s_delay_alu instid0(VALU_DEP_2) | instskip(NEXT) | instid1(VALU_DEP_2)
	v_add_co_u32 v8, vcc_lo, v9, v8
	v_add_co_ci_u32_e32 v9, vcc_lo, 0, v10, vcc_lo
	s_delay_alu instid0(VALU_DEP_2) | instskip(NEXT) | instid1(VALU_DEP_2)
	v_add_co_u32 v10, vcc_lo, v4, v8
	v_add_co_ci_u32_e32 v12, vcc_lo, v5, v9, vcc_lo
	s_delay_alu instid0(VALU_DEP_2) | instskip(SKIP_1) | instid1(VALU_DEP_3)
	v_mul_hi_u32 v13, v6, v10
	v_mad_u64_u32 v[8:9], null, v7, v10, 0
	v_mad_u64_u32 v[4:5], null, v6, v12, 0
	;; [unrolled: 1-line block ×3, first 2 shown]
	s_delay_alu instid0(VALU_DEP_2) | instskip(NEXT) | instid1(VALU_DEP_3)
	v_add_co_u32 v4, vcc_lo, v13, v4
	v_add_co_ci_u32_e32 v5, vcc_lo, 0, v5, vcc_lo
	s_delay_alu instid0(VALU_DEP_2) | instskip(NEXT) | instid1(VALU_DEP_2)
	v_add_co_u32 v4, vcc_lo, v4, v8
	v_add_co_ci_u32_e32 v4, vcc_lo, v5, v9, vcc_lo
	v_add_co_ci_u32_e32 v5, vcc_lo, 0, v11, vcc_lo
	s_delay_alu instid0(VALU_DEP_2) | instskip(NEXT) | instid1(VALU_DEP_2)
	v_add_co_u32 v8, vcc_lo, v4, v10
	v_add_co_ci_u32_e32 v9, vcc_lo, 0, v5, vcc_lo
	s_delay_alu instid0(VALU_DEP_2) | instskip(SKIP_1) | instid1(VALU_DEP_3)
	v_mul_lo_u32 v10, s11, v8
	v_mad_u64_u32 v[4:5], null, s10, v8, 0
	v_mul_lo_u32 v11, s10, v9
	s_delay_alu instid0(VALU_DEP_2) | instskip(NEXT) | instid1(VALU_DEP_2)
	v_sub_co_u32 v4, vcc_lo, v6, v4
	v_add3_u32 v5, v5, v11, v10
	s_delay_alu instid0(VALU_DEP_1) | instskip(NEXT) | instid1(VALU_DEP_1)
	v_sub_nc_u32_e32 v10, v7, v5
	v_subrev_co_ci_u32_e64 v10, s0, s11, v10, vcc_lo
	v_add_co_u32 v11, s0, v8, 2
	s_delay_alu instid0(VALU_DEP_1) | instskip(SKIP_3) | instid1(VALU_DEP_3)
	v_add_co_ci_u32_e64 v12, s0, 0, v9, s0
	v_sub_co_u32 v13, s0, v4, s10
	v_sub_co_ci_u32_e32 v5, vcc_lo, v7, v5, vcc_lo
	v_subrev_co_ci_u32_e64 v10, s0, 0, v10, s0
	v_cmp_le_u32_e32 vcc_lo, s10, v13
	s_delay_alu instid0(VALU_DEP_3) | instskip(SKIP_1) | instid1(VALU_DEP_4)
	v_cmp_eq_u32_e64 s0, s11, v5
	v_cndmask_b32_e64 v13, 0, -1, vcc_lo
	v_cmp_le_u32_e32 vcc_lo, s11, v10
	v_cndmask_b32_e64 v14, 0, -1, vcc_lo
	v_cmp_le_u32_e32 vcc_lo, s10, v4
	;; [unrolled: 2-line block ×3, first 2 shown]
	v_cndmask_b32_e64 v15, 0, -1, vcc_lo
	v_cmp_eq_u32_e32 vcc_lo, s11, v10
	s_delay_alu instid0(VALU_DEP_2) | instskip(SKIP_3) | instid1(VALU_DEP_3)
	v_cndmask_b32_e64 v4, v15, v4, s0
	v_cndmask_b32_e32 v10, v14, v13, vcc_lo
	v_add_co_u32 v13, vcc_lo, v8, 1
	v_add_co_ci_u32_e32 v14, vcc_lo, 0, v9, vcc_lo
	v_cmp_ne_u32_e32 vcc_lo, 0, v10
	s_delay_alu instid0(VALU_DEP_2) | instskip(SKIP_1) | instid1(VALU_DEP_2)
	v_dual_cndmask_b32 v5, v14, v12 :: v_dual_cndmask_b32 v10, v13, v11
	v_cmp_ne_u32_e32 vcc_lo, 0, v4
	v_dual_cndmask_b32 v5, v9, v5 :: v_dual_cndmask_b32 v4, v8, v10
.LBB37_7:
	s_and_not1_saveexec_b32 s0, s1
	s_cbranch_execz .LBB37_9
; %bb.8:
	v_cvt_f32_u32_e32 v4, s10
	s_sub_i32 s1, 0, s10
	s_delay_alu instid0(VALU_DEP_1) | instskip(SKIP_2) | instid1(VALU_DEP_1)
	v_rcp_iflag_f32_e32 v4, v4
	s_waitcnt_depctr 0xfff
	v_mul_f32_e32 v4, 0x4f7ffffe, v4
	v_cvt_u32_f32_e32 v4, v4
	s_delay_alu instid0(VALU_DEP_1) | instskip(NEXT) | instid1(VALU_DEP_1)
	v_mul_lo_u32 v5, s1, v4
	v_mul_hi_u32 v5, v4, v5
	s_delay_alu instid0(VALU_DEP_1) | instskip(NEXT) | instid1(VALU_DEP_1)
	v_add_nc_u32_e32 v4, v4, v5
	v_mul_hi_u32 v4, v6, v4
	s_delay_alu instid0(VALU_DEP_1) | instskip(SKIP_1) | instid1(VALU_DEP_2)
	v_mul_lo_u32 v5, v4, s10
	v_add_nc_u32_e32 v8, 1, v4
	v_sub_nc_u32_e32 v5, v6, v5
	s_delay_alu instid0(VALU_DEP_1) | instskip(SKIP_1) | instid1(VALU_DEP_2)
	v_subrev_nc_u32_e32 v9, s10, v5
	v_cmp_le_u32_e32 vcc_lo, s10, v5
	v_dual_cndmask_b32 v5, v5, v9 :: v_dual_cndmask_b32 v4, v4, v8
	s_delay_alu instid0(VALU_DEP_1) | instskip(NEXT) | instid1(VALU_DEP_2)
	v_cmp_le_u32_e32 vcc_lo, s10, v5
	v_dual_mov_b32 v5, 0 :: v_dual_add_nc_u32 v8, 1, v4
	s_delay_alu instid0(VALU_DEP_1)
	v_cndmask_b32_e32 v4, v4, v8, vcc_lo
.LBB37_9:
	s_or_b32 exec_lo, exec_lo, s0
	s_delay_alu instid0(VALU_DEP_1) | instskip(NEXT) | instid1(VALU_DEP_2)
	v_mul_lo_u32 v12, v5, s10
	v_mul_lo_u32 v13, v4, s11
	v_mad_u64_u32 v[8:9], null, v4, s10, 0
	v_mad_u64_u32 v[10:11], null, v2, s6, v[4:5]
	v_mul_lo_u32 v2, v2, s7
	v_mul_lo_u32 v3, v3, s6
	s_delay_alu instid0(VALU_DEP_4) | instskip(NEXT) | instid1(VALU_DEP_2)
	v_add3_u32 v4, v9, v13, v12
	v_add3_u32 v5, v3, v11, v2
	v_sub_co_u32 v2, vcc_lo, v6, v8
	s_delay_alu instid0(VALU_DEP_3) | instskip(SKIP_1) | instid1(VALU_DEP_4)
	v_sub_co_ci_u32_e32 v3, vcc_lo, v7, v4, vcc_lo
	v_mul_lo_u32 v6, v10, s5
	v_mul_lo_u32 v7, v5, s4
                                        ; implicit-def: $vgpr8
	s_delay_alu instid0(VALU_DEP_3) | instskip(NEXT) | instid1(VALU_DEP_1)
	v_mad_u64_u32 v[4:5], null, v10, s4, v[2:3]
	v_add3_u32 v5, v7, v5, v6
	s_delay_alu instid0(VALU_DEP_2) | instskip(NEXT) | instid1(VALU_DEP_2)
	v_cvt_f64_u32_e32 v[6:7], v4
	v_cvt_f64_u32_e32 v[2:3], v5
	v_cmp_lt_u64_e32 vcc_lo, 0x3fffffff, v[4:5]
                                        ; implicit-def: $vgpr4_vgpr5
	s_delay_alu instid0(VALU_DEP_2) | instskip(NEXT) | instid1(VALU_DEP_1)
	v_ldexp_f64 v[2:3], v[2:3], 32
	v_add_f64 v[6:7], v[2:3], v[6:7]
                                        ; implicit-def: $vgpr2_vgpr3
	s_and_saveexec_b32 s0, vcc_lo
	s_delay_alu instid0(SALU_CYCLE_1)
	s_xor_b32 s1, exec_lo, s0
	s_cbranch_execz .LBB37_11
; %bb.10:
	s_delay_alu instid0(VALU_DEP_1)
	v_trig_preop_f64 v[2:3], v[6:7], 0
	v_trig_preop_f64 v[4:5], v[6:7], 1
	;; [unrolled: 1-line block ×3, first 2 shown]
	v_mov_b32_e32 v24, 0
	s_mov_b32 s2, 0x54442d18
	s_mov_b32 s3, 0x3ff921fb
	;; [unrolled: 1-line block ×4, first 2 shown]
	s_delay_alu instid0(VALU_DEP_4) | instskip(NEXT) | instid1(VALU_DEP_4)
	v_mul_f64 v[8:9], v[2:3], v[6:7]
	v_mul_f64 v[10:11], v[4:5], v[6:7]
	s_delay_alu instid0(VALU_DEP_4) | instskip(NEXT) | instid1(VALU_DEP_3)
	v_mul_f64 v[22:23], v[16:17], v[6:7]
	v_fma_f64 v[2:3], v[2:3], v[6:7], -v[8:9]
	s_delay_alu instid0(VALU_DEP_3) | instskip(NEXT) | instid1(VALU_DEP_3)
	v_fma_f64 v[4:5], v[4:5], v[6:7], -v[10:11]
	v_fma_f64 v[6:7], v[16:17], v[6:7], -v[22:23]
	s_delay_alu instid0(VALU_DEP_3) | instskip(NEXT) | instid1(VALU_DEP_1)
	v_add_f64 v[12:13], v[10:11], v[2:3]
	v_add_f64 v[14:15], v[12:13], -v[10:11]
	v_add_f64 v[20:21], v[8:9], v[12:13]
	s_delay_alu instid0(VALU_DEP_2) | instskip(SKIP_1) | instid1(VALU_DEP_3)
	v_add_f64 v[18:19], v[12:13], -v[14:15]
	v_add_f64 v[2:3], v[2:3], -v[14:15]
	v_ldexp_f64 v[14:15], v[20:21], -2
	v_add_f64 v[8:9], v[20:21], -v[8:9]
	s_delay_alu instid0(VALU_DEP_4) | instskip(SKIP_1) | instid1(VALU_DEP_4)
	v_add_f64 v[10:11], v[10:11], -v[18:19]
	v_add_f64 v[18:19], v[22:23], v[4:5]
	v_cmp_neq_f64_e64 vcc_lo, 0x7ff00000, |v[14:15]|
	s_delay_alu instid0(VALU_DEP_4) | instskip(NEXT) | instid1(VALU_DEP_4)
	v_add_f64 v[8:9], v[12:13], -v[8:9]
	v_add_f64 v[2:3], v[2:3], v[10:11]
	v_fract_f64_e32 v[10:11], v[14:15]
	s_delay_alu instid0(VALU_DEP_2) | instskip(NEXT) | instid1(VALU_DEP_2)
	v_add_f64 v[12:13], v[18:19], v[2:3]
	v_dual_cndmask_b32 v11, 0, v11 :: v_dual_cndmask_b32 v10, 0, v10
	s_delay_alu instid0(VALU_DEP_1) | instskip(NEXT) | instid1(VALU_DEP_3)
	v_ldexp_f64 v[10:11], v[10:11], 2
	v_add_f64 v[14:15], v[8:9], v[12:13]
	s_delay_alu instid0(VALU_DEP_1) | instskip(SKIP_1) | instid1(VALU_DEP_2)
	v_add_f64 v[20:21], v[14:15], v[10:11]
	v_add_f64 v[8:9], v[14:15], -v[8:9]
	v_cmp_gt_f64_e32 vcc_lo, 0, v[20:21]
	v_add_f64 v[20:21], v[18:19], -v[22:23]
	s_delay_alu instid0(VALU_DEP_3) | instskip(SKIP_1) | instid1(VALU_DEP_3)
	v_add_f64 v[8:9], v[12:13], -v[8:9]
	v_cndmask_b32_e64 v25, 0, 0x40100000, vcc_lo
	v_add_f64 v[29:30], v[18:19], -v[20:21]
	v_add_f64 v[4:5], v[4:5], -v[20:21]
	s_delay_alu instid0(VALU_DEP_3) | instskip(SKIP_1) | instid1(VALU_DEP_4)
	v_add_f64 v[10:11], v[10:11], v[24:25]
	v_add_f64 v[25:26], v[12:13], -v[18:19]
	v_add_f64 v[20:21], v[22:23], -v[29:30]
	s_delay_alu instid0(VALU_DEP_3) | instskip(NEXT) | instid1(VALU_DEP_3)
	v_add_f64 v[27:28], v[14:15], v[10:11]
	v_add_f64 v[31:32], v[12:13], -v[25:26]
	v_add_f64 v[2:3], v[2:3], -v[25:26]
	s_delay_alu instid0(VALU_DEP_4) | instskip(NEXT) | instid1(VALU_DEP_4)
	v_add_f64 v[4:5], v[4:5], v[20:21]
	v_cvt_i32_f64_e32 v27, v[27:28]
	s_delay_alu instid0(VALU_DEP_4) | instskip(NEXT) | instid1(VALU_DEP_2)
	v_add_f64 v[18:19], v[18:19], -v[31:32]
	v_cvt_f64_i32_e32 v[25:26], v27
	s_delay_alu instid0(VALU_DEP_2) | instskip(NEXT) | instid1(VALU_DEP_2)
	v_add_f64 v[2:3], v[2:3], v[18:19]
	v_add_f64 v[10:11], v[10:11], -v[25:26]
	s_delay_alu instid0(VALU_DEP_2) | instskip(NEXT) | instid1(VALU_DEP_2)
	v_add_f64 v[2:3], v[4:5], v[2:3]
	v_add_f64 v[4:5], v[14:15], v[10:11]
	s_delay_alu instid0(VALU_DEP_2) | instskip(NEXT) | instid1(VALU_DEP_2)
	v_add_f64 v[2:3], v[6:7], v[2:3]
	v_add_f64 v[6:7], v[4:5], -v[10:11]
	v_cmp_le_f64_e32 vcc_lo, 0.5, v[4:5]
	s_delay_alu instid0(VALU_DEP_3) | instskip(NEXT) | instid1(VALU_DEP_3)
	v_add_f64 v[2:3], v[8:9], v[2:3]
	v_add_f64 v[6:7], v[14:15], -v[6:7]
	v_cndmask_b32_e64 v25, 0, 0x3ff00000, vcc_lo
	v_add_co_ci_u32_e64 v8, s0, 0, v27, vcc_lo
	s_delay_alu instid0(VALU_DEP_2) | instskip(NEXT) | instid1(VALU_DEP_4)
	v_add_f64 v[4:5], v[4:5], -v[24:25]
	v_add_f64 v[2:3], v[2:3], v[6:7]
	s_delay_alu instid0(VALU_DEP_1) | instskip(NEXT) | instid1(VALU_DEP_1)
	v_add_f64 v[6:7], v[4:5], v[2:3]
	v_mul_f64 v[9:10], v[6:7], s[2:3]
	v_add_f64 v[4:5], v[6:7], -v[4:5]
	s_delay_alu instid0(VALU_DEP_2) | instskip(NEXT) | instid1(VALU_DEP_2)
	v_fma_f64 v[11:12], v[6:7], s[2:3], -v[9:10]
	v_add_f64 v[2:3], v[2:3], -v[4:5]
	s_delay_alu instid0(VALU_DEP_2) | instskip(NEXT) | instid1(VALU_DEP_1)
	v_fma_f64 v[4:5], v[6:7], s[4:5], v[11:12]
	v_fma_f64 v[4:5], v[2:3], s[2:3], v[4:5]
	s_delay_alu instid0(VALU_DEP_1) | instskip(NEXT) | instid1(VALU_DEP_1)
	v_add_f64 v[2:3], v[9:10], v[4:5]
	v_add_f64 v[6:7], v[2:3], -v[9:10]
	s_delay_alu instid0(VALU_DEP_1)
	v_add_f64 v[4:5], v[4:5], -v[6:7]
                                        ; implicit-def: $vgpr6_vgpr7
.LBB37_11:
	s_and_not1_saveexec_b32 s0, s1
	s_cbranch_execz .LBB37_13
; %bb.12:
	s_mov_b32 s2, 0x6dc9c883
	s_mov_b32 s3, 0x3fe45f30
	;; [unrolled: 1-line block ×3, first 2 shown]
	s_delay_alu instid0(VALU_DEP_1) | instskip(SKIP_3) | instid1(VALU_DEP_1)
	v_mul_f64 v[2:3], v[6:7], s[2:3]
	s_mov_b32 s2, 0x54442d18
	s_mov_b32 s3, 0xbff921fb
	;; [unrolled: 1-line block ×3, first 2 shown]
	v_rndne_f64_e32 v[8:9], v[2:3]
	s_delay_alu instid0(VALU_DEP_1) | instskip(SKIP_3) | instid1(VALU_DEP_2)
	v_fma_f64 v[2:3], v[8:9], s[2:3], v[6:7]
	v_mul_f64 v[4:5], v[8:9], s[4:5]
	s_mov_b32 s2, 0x252049c0
	s_mov_b32 s3, 0xb97b839a
	v_fma_f64 v[10:11], v[8:9], s[4:5], v[2:3]
	s_delay_alu instid0(VALU_DEP_2) | instskip(SKIP_1) | instid1(VALU_DEP_1)
	v_add_f64 v[6:7], v[2:3], v[4:5]
	s_mov_b32 s5, 0x3c91a626
	v_add_f64 v[2:3], v[2:3], -v[6:7]
	s_delay_alu instid0(VALU_DEP_3) | instskip(NEXT) | instid1(VALU_DEP_2)
	v_add_f64 v[6:7], v[6:7], -v[10:11]
	v_add_f64 v[2:3], v[2:3], v[4:5]
	v_fma_f64 v[4:5], v[8:9], s[4:5], v[4:5]
	s_delay_alu instid0(VALU_DEP_2) | instskip(NEXT) | instid1(VALU_DEP_1)
	v_add_f64 v[2:3], v[6:7], v[2:3]
	v_add_f64 v[2:3], v[2:3], -v[4:5]
	s_delay_alu instid0(VALU_DEP_1) | instskip(SKIP_1) | instid1(VALU_DEP_2)
	v_fma_f64 v[4:5], v[8:9], s[2:3], v[2:3]
	v_cvt_i32_f64_e32 v8, v[8:9]
	v_add_f64 v[2:3], v[10:11], v[4:5]
	s_delay_alu instid0(VALU_DEP_1) | instskip(NEXT) | instid1(VALU_DEP_1)
	v_add_f64 v[6:7], v[2:3], -v[10:11]
	v_add_f64 v[4:5], v[4:5], -v[6:7]
.LBB37_13:
	s_or_b32 exec_lo, exec_lo, s0
	v_mul_f64 v[6:7], v[2:3], v[2:3]
	s_mov_b32 s0, 0xb42fdfa7
	s_mov_b32 s2, 0xf9a43bb8
	;; [unrolled: 1-line block ×4, first 2 shown]
	s_delay_alu instid0(VALU_DEP_2) | instskip(NEXT) | instid1(VALU_DEP_2)
	v_mul_f64 v[17:18], v[4:5], 0.5
	v_fma_f64 v[9:10], v[6:7], s[2:3], s[0:1]
	s_mov_b32 s0, 0x796cde01
	s_mov_b32 s1, 0x3ec71de3
	;; [unrolled: 1-line block ×4, first 2 shown]
	v_mul_f64 v[13:14], v[6:7], 0.5
	v_mul_f64 v[19:20], v[2:3], -v[6:7]
	s_delay_alu instid0(VALU_DEP_3) | instskip(SKIP_2) | instid1(SALU_CYCLE_1)
	v_fma_f64 v[9:10], v[6:7], v[9:10], s[0:1]
	s_mov_b32 s0, 0x46cc5e42
	s_mov_b32 s1, 0xbda907db
	v_fma_f64 v[11:12], v[6:7], s[0:1], s[2:3]
	s_mov_b32 s0, 0x19e83e5c
	s_mov_b32 s1, 0xbf2a01a0
	s_delay_alu instid0(VALU_DEP_4) | instskip(NEXT) | instid1(VALU_DEP_3)
	v_add_f64 v[15:16], -v[13:14], 1.0
	v_fma_f64 v[9:10], v[6:7], v[9:10], s[0:1]
	s_mov_b32 s0, 0xa17f65f6
	s_mov_b32 s1, 0xbe927e4f
	s_delay_alu instid0(VALU_DEP_3) | instid1(SALU_CYCLE_1)
	v_fma_f64 v[11:12], v[6:7], v[11:12], s[0:1]
	s_mov_b32 s0, 0x11110bb3
	s_mov_b32 s1, 0x3f811111
	s_delay_alu instid0(VALU_DEP_3) | instskip(NEXT) | instid1(VALU_DEP_3)
	v_add_f64 v[21:22], -v[15:16], 1.0
	v_fma_f64 v[9:10], v[6:7], v[9:10], s[0:1]
	s_mov_b32 s0, 0x19f4ec90
	s_mov_b32 s1, 0x3efa01a0
	s_delay_alu instid0(VALU_DEP_3) | instid1(SALU_CYCLE_1)
	v_fma_f64 v[11:12], v[6:7], v[11:12], s[0:1]
	s_mov_b32 s0, 0x16c16967
	s_mov_b32 s1, 0xbf56c16c
	s_delay_alu instid0(VALU_DEP_3) | instskip(NEXT) | instid1(VALU_DEP_3)
	v_add_f64 v[13:14], v[21:22], -v[13:14]
	v_fma_f64 v[9:10], v[19:20], v[9:10], v[17:18]
	v_mul_f64 v[17:18], v[6:7], v[6:7]
	s_delay_alu instid0(VALU_DEP_4) | instskip(SKIP_2) | instid1(VALU_DEP_3)
	v_fma_f64 v[11:12], v[6:7], v[11:12], s[0:1]
	s_mov_b32 s1, 0x3fa55555
	s_mov_b32 s0, 0x55555555
	v_fma_f64 v[9:10], v[6:7], v[9:10], -v[4:5]
	v_fma_f64 v[4:5], v[2:3], -v[4:5], v[13:14]
	s_delay_alu instid0(VALU_DEP_3)
	v_fma_f64 v[6:7], v[6:7], v[11:12], s[0:1]
	s_mov_b32 s1, 0xbfc55555
	s_delay_alu instid0(VALU_DEP_3) | instid1(SALU_CYCLE_1)
	v_fma_f64 v[9:10], v[19:20], s[0:1], v[9:10]
	s_delay_alu instid0(VALU_DEP_2) | instskip(NEXT) | instid1(VALU_DEP_2)
	v_fma_f64 v[4:5], v[17:18], v[6:7], v[4:5]
	v_add_f64 v[2:3], v[2:3], -v[9:10]
	s_delay_alu instid0(VALU_DEP_2) | instskip(NEXT) | instid1(VALU_DEP_2)
	v_add_f64 v[4:5], v[15:16], v[4:5]
	v_xor_b32_e32 v3, 0x80000000, v3
	v_and_b32_e32 v6, 1, v8
	s_delay_alu instid0(VALU_DEP_1) | instskip(NEXT) | instid1(VALU_DEP_3)
	v_cmp_eq_u32_e32 vcc_lo, 0, v6
	v_dual_cndmask_b32 v3, v3, v5 :: v_dual_lshlrev_b32 v6, 30, v8
	v_cndmask_b32_e32 v2, v2, v4, vcc_lo
	s_delay_alu instid0(VALU_DEP_2) | instskip(NEXT) | instid1(VALU_DEP_1)
	v_and_b32_e32 v4, 0x80000000, v6
	v_xor_b32_e32 v3, v3, v4
	s_delay_alu instid0(VALU_DEP_1) | instskip(NEXT) | instid1(VALU_DEP_1)
	v_cvt_f32_f64_e32 v3, v[2:3]
	v_and_b32_e32 v2, 0x7f800000, v3
	s_delay_alu instid0(VALU_DEP_1) | instskip(SKIP_1) | instid1(SALU_CYCLE_1)
	v_cmp_ne_u32_e32 vcc_lo, 0x7f800000, v2
                                        ; implicit-def: $vgpr2
	s_and_saveexec_b32 s0, vcc_lo
	s_xor_b32 s0, exec_lo, s0
; %bb.14:
	v_bfe_u32 v2, v3, 16, 1
	s_delay_alu instid0(VALU_DEP_1)
	v_add3_u32 v2, v3, v2, 0x7fff
                                        ; implicit-def: $vgpr3
; %bb.15:
	s_and_not1_saveexec_b32 s0, s0
; %bb.16:
	v_and_b32_e32 v2, 0xffff, v3
	v_or_b32_e32 v4, 0x10000, v3
	s_delay_alu instid0(VALU_DEP_2) | instskip(NEXT) | instid1(VALU_DEP_2)
	v_cmp_eq_u32_e32 vcc_lo, 0, v2
	v_cndmask_b32_e32 v2, v4, v3, vcc_lo
; %bb.17:
	s_or_b32 exec_lo, exec_lo, s0
	v_lshlrev_b64 v[0:1], 1, v[0:1]
	s_delay_alu instid0(VALU_DEP_1) | instskip(NEXT) | instid1(VALU_DEP_2)
	v_add_co_u32 v0, vcc_lo, s16, v0
	v_add_co_ci_u32_e32 v1, vcc_lo, s17, v1, vcc_lo
	global_store_d16_hi_b16 v[0:1], v2, off
.LBB37_18:
	s_nop 0
	s_sendmsg sendmsg(MSG_DEALLOC_VGPRS)
	s_endpgm
	.section	.rodata,"a",@progbits
	.p2align	6, 0x0
	.amdhsa_kernel _Z11fill_kernelI12hip_bfloat16Z21hipblaslt_init_deviceIS0_Ev8ABC_dims24hipblaslt_initializationbPT_mmmmmEUlmE3_EvS5_mmT0_
		.amdhsa_group_segment_fixed_size 0
		.amdhsa_private_segment_fixed_size 0
		.amdhsa_kernarg_size 312
		.amdhsa_user_sgpr_count 15
		.amdhsa_user_sgpr_dispatch_ptr 0
		.amdhsa_user_sgpr_queue_ptr 0
		.amdhsa_user_sgpr_kernarg_segment_ptr 1
		.amdhsa_user_sgpr_dispatch_id 0
		.amdhsa_user_sgpr_private_segment_size 0
		.amdhsa_wavefront_size32 1
		.amdhsa_uses_dynamic_stack 0
		.amdhsa_enable_private_segment 0
		.amdhsa_system_sgpr_workgroup_id_x 1
		.amdhsa_system_sgpr_workgroup_id_y 0
		.amdhsa_system_sgpr_workgroup_id_z 0
		.amdhsa_system_sgpr_workgroup_info 0
		.amdhsa_system_vgpr_workitem_id 0
		.amdhsa_next_free_vgpr 33
		.amdhsa_next_free_sgpr 20
		.amdhsa_reserve_vcc 1
		.amdhsa_float_round_mode_32 0
		.amdhsa_float_round_mode_16_64 0
		.amdhsa_float_denorm_mode_32 3
		.amdhsa_float_denorm_mode_16_64 3
		.amdhsa_dx10_clamp 1
		.amdhsa_ieee_mode 1
		.amdhsa_fp16_overflow 0
		.amdhsa_workgroup_processor_mode 1
		.amdhsa_memory_ordered 1
		.amdhsa_forward_progress 0
		.amdhsa_shared_vgpr_count 0
		.amdhsa_exception_fp_ieee_invalid_op 0
		.amdhsa_exception_fp_denorm_src 0
		.amdhsa_exception_fp_ieee_div_zero 0
		.amdhsa_exception_fp_ieee_overflow 0
		.amdhsa_exception_fp_ieee_underflow 0
		.amdhsa_exception_fp_ieee_inexact 0
		.amdhsa_exception_int_div_zero 0
	.end_amdhsa_kernel
	.section	.text._Z11fill_kernelI12hip_bfloat16Z21hipblaslt_init_deviceIS0_Ev8ABC_dims24hipblaslt_initializationbPT_mmmmmEUlmE3_EvS5_mmT0_,"axG",@progbits,_Z11fill_kernelI12hip_bfloat16Z21hipblaslt_init_deviceIS0_Ev8ABC_dims24hipblaslt_initializationbPT_mmmmmEUlmE3_EvS5_mmT0_,comdat
.Lfunc_end37:
	.size	_Z11fill_kernelI12hip_bfloat16Z21hipblaslt_init_deviceIS0_Ev8ABC_dims24hipblaslt_initializationbPT_mmmmmEUlmE3_EvS5_mmT0_, .Lfunc_end37-_Z11fill_kernelI12hip_bfloat16Z21hipblaslt_init_deviceIS0_Ev8ABC_dims24hipblaslt_initializationbPT_mmmmmEUlmE3_EvS5_mmT0_
                                        ; -- End function
	.section	.AMDGPU.csdata,"",@progbits
; Kernel info:
; codeLenInByte = 3676
; NumSgprs: 22
; NumVgprs: 33
; ScratchSize: 0
; MemoryBound: 0
; FloatMode: 240
; IeeeMode: 1
; LDSByteSize: 0 bytes/workgroup (compile time only)
; SGPRBlocks: 2
; VGPRBlocks: 4
; NumSGPRsForWavesPerEU: 22
; NumVGPRsForWavesPerEU: 33
; Occupancy: 16
; WaveLimiterHint : 0
; COMPUTE_PGM_RSRC2:SCRATCH_EN: 0
; COMPUTE_PGM_RSRC2:USER_SGPR: 15
; COMPUTE_PGM_RSRC2:TRAP_HANDLER: 0
; COMPUTE_PGM_RSRC2:TGID_X_EN: 1
; COMPUTE_PGM_RSRC2:TGID_Y_EN: 0
; COMPUTE_PGM_RSRC2:TGID_Z_EN: 0
; COMPUTE_PGM_RSRC2:TIDIG_COMP_CNT: 0
	.section	.text._Z11fill_kernelI12hip_bfloat16Z21hipblaslt_init_deviceIS0_Ev8ABC_dims24hipblaslt_initializationbPT_mmmmmEUlmE4_EvS5_mmT0_,"axG",@progbits,_Z11fill_kernelI12hip_bfloat16Z21hipblaslt_init_deviceIS0_Ev8ABC_dims24hipblaslt_initializationbPT_mmmmmEUlmE4_EvS5_mmT0_,comdat
	.protected	_Z11fill_kernelI12hip_bfloat16Z21hipblaslt_init_deviceIS0_Ev8ABC_dims24hipblaslt_initializationbPT_mmmmmEUlmE4_EvS5_mmT0_ ; -- Begin function _Z11fill_kernelI12hip_bfloat16Z21hipblaslt_init_deviceIS0_Ev8ABC_dims24hipblaslt_initializationbPT_mmmmmEUlmE4_EvS5_mmT0_
	.globl	_Z11fill_kernelI12hip_bfloat16Z21hipblaslt_init_deviceIS0_Ev8ABC_dims24hipblaslt_initializationbPT_mmmmmEUlmE4_EvS5_mmT0_
	.p2align	8
	.type	_Z11fill_kernelI12hip_bfloat16Z21hipblaslt_init_deviceIS0_Ev8ABC_dims24hipblaslt_initializationbPT_mmmmmEUlmE4_EvS5_mmT0_,@function
_Z11fill_kernelI12hip_bfloat16Z21hipblaslt_init_deviceIS0_Ev8ABC_dims24hipblaslt_initializationbPT_mmmmmEUlmE4_EvS5_mmT0_: ; @_Z11fill_kernelI12hip_bfloat16Z21hipblaslt_init_deviceIS0_Ev8ABC_dims24hipblaslt_initializationbPT_mmmmmEUlmE4_EvS5_mmT0_
; %bb.0:
	s_clause 0x1
	s_load_b32 s2, s[0:1], 0x2c
	s_load_b128 s[4:7], s[0:1], 0x0
	s_waitcnt lgkmcnt(0)
	s_and_b32 s2, s2, 0xffff
	s_delay_alu instid0(SALU_CYCLE_1) | instskip(SKIP_2) | instid1(VALU_DEP_1)
	v_mad_u64_u32 v[1:2], null, s15, s2, v[0:1]
	v_mov_b32_e32 v2, 0
	s_mov_b32 s2, exec_lo
	v_cmpx_gt_u64_e64 s[6:7], v[1:2]
	s_cbranch_execz .LBB38_6
; %bb.1:
	s_load_b64 s[0:1], s[0:1], 0x10
	s_mov_b32 s2, 0x19660d
	s_waitcnt lgkmcnt(0)
	v_add_co_u32 v0, s0, v1, s0
	s_delay_alu instid0(VALU_DEP_1) | instskip(SKIP_1) | instid1(VALU_DEP_2)
	v_add_co_ci_u32_e64 v1, null, 0, s1, s0
	s_mov_b32 s0, 0xffe00000
	v_mad_u64_u32 v[2:3], null, v0, s2, 0x3c6ef35f
	s_mov_b32 s1, 0x41efffff
	s_delay_alu instid0(VALU_DEP_1) | instskip(NEXT) | instid1(VALU_DEP_1)
	v_mad_u64_u32 v[4:5], null, 0x19660d, v1, v[3:4]
	v_mov_b32_e32 v3, v4
	s_delay_alu instid0(VALU_DEP_1) | instskip(NEXT) | instid1(VALU_DEP_1)
	v_lshlrev_b64 v[4:5], 13, v[2:3]
	v_xor_b32_e32 v3, v5, v3
	s_delay_alu instid0(VALU_DEP_2) | instskip(NEXT) | instid1(VALU_DEP_1)
	v_xor_b32_e32 v2, v4, v2
	v_lshrrev_b64 v[4:5], 17, v[2:3]
	s_delay_alu instid0(VALU_DEP_1) | instskip(NEXT) | instid1(VALU_DEP_2)
	v_xor_b32_e32 v3, v5, v3
	v_xor_b32_e32 v2, v4, v2
	s_delay_alu instid0(VALU_DEP_1) | instskip(NEXT) | instid1(VALU_DEP_1)
	v_lshlrev_b64 v[4:5], 5, v[2:3]
	v_xor_b32_e32 v3, v5, v3
	s_delay_alu instid0(VALU_DEP_2) | instskip(NEXT) | instid1(VALU_DEP_1)
	v_xor_b32_e32 v2, v4, v2
	v_lshlrev_b64 v[4:5], 13, v[2:3]
	s_delay_alu instid0(VALU_DEP_1) | instskip(NEXT) | instid1(VALU_DEP_2)
	v_xor_b32_e32 v3, v5, v3
	v_xor_b32_e32 v2, v4, v2
	s_delay_alu instid0(VALU_DEP_1) | instskip(NEXT) | instid1(VALU_DEP_1)
	v_lshrrev_b64 v[4:5], 17, v[2:3]
	v_xor_b32_e32 v3, v5, v3
	s_delay_alu instid0(VALU_DEP_2) | instskip(NEXT) | instid1(VALU_DEP_1)
	v_xor_b32_e32 v2, v4, v2
	v_lshlrev_b64 v[4:5], 5, v[2:3]
	s_delay_alu instid0(VALU_DEP_1) | instskip(NEXT) | instid1(VALU_DEP_2)
	v_xor_b32_e32 v3, v5, v3
	v_xor_b32_e32 v2, v4, v2
	s_delay_alu instid0(VALU_DEP_1) | instskip(NEXT) | instid1(VALU_DEP_1)
	v_lshlrev_b64 v[4:5], 13, v[2:3]
	v_xor_b32_e32 v3, v5, v3
	s_delay_alu instid0(VALU_DEP_2) | instskip(NEXT) | instid1(VALU_DEP_1)
	v_xor_b32_e32 v2, v4, v2
	v_alignbit_b32 v3, v3, v2, 17
	s_delay_alu instid0(VALU_DEP_1) | instskip(NEXT) | instid1(VALU_DEP_1)
	v_xor_b32_e32 v2, v3, v2
	v_lshlrev_b32_e32 v3, 5, v2
	s_delay_alu instid0(VALU_DEP_1) | instskip(NEXT) | instid1(VALU_DEP_1)
	v_xor_b32_e32 v2, v3, v2
	v_cvt_f64_u32_e32 v[2:3], v2
	s_delay_alu instid0(VALU_DEP_1) | instskip(NEXT) | instid1(VALU_DEP_1)
	v_div_scale_f64 v[4:5], null, s[0:1], s[0:1], v[2:3]
	v_rcp_f64_e32 v[6:7], v[4:5]
	s_waitcnt_depctr 0xfff
	v_fma_f64 v[8:9], -v[4:5], v[6:7], 1.0
	s_delay_alu instid0(VALU_DEP_1) | instskip(NEXT) | instid1(VALU_DEP_1)
	v_fma_f64 v[6:7], v[6:7], v[8:9], v[6:7]
	v_fma_f64 v[8:9], -v[4:5], v[6:7], 1.0
	s_delay_alu instid0(VALU_DEP_1) | instskip(SKIP_1) | instid1(VALU_DEP_1)
	v_fma_f64 v[6:7], v[6:7], v[8:9], v[6:7]
	v_div_scale_f64 v[8:9], vcc_lo, v[2:3], s[0:1], v[2:3]
	v_mul_f64 v[10:11], v[8:9], v[6:7]
	s_delay_alu instid0(VALU_DEP_1) | instskip(NEXT) | instid1(VALU_DEP_1)
	v_fma_f64 v[4:5], -v[4:5], v[10:11], v[8:9]
	v_div_fmas_f64 v[4:5], v[4:5], v[6:7], v[10:11]
	s_delay_alu instid0(VALU_DEP_1) | instskip(NEXT) | instid1(VALU_DEP_1)
	v_div_fixup_f64 v[2:3], v[4:5], s[0:1], v[2:3]
	v_add_f64 v[2:3], v[2:3], -0.5
	s_delay_alu instid0(VALU_DEP_1) | instskip(NEXT) | instid1(VALU_DEP_1)
	v_cvt_f32_f64_e32 v3, v[2:3]
	v_and_b32_e32 v2, 0x7f800000, v3
	s_delay_alu instid0(VALU_DEP_1) | instskip(SKIP_1) | instid1(SALU_CYCLE_1)
	v_cmp_ne_u32_e32 vcc_lo, 0x7f800000, v2
                                        ; implicit-def: $vgpr2
	s_and_saveexec_b32 s0, vcc_lo
	s_xor_b32 s0, exec_lo, s0
; %bb.2:
	v_bfe_u32 v2, v3, 16, 1
	s_delay_alu instid0(VALU_DEP_1)
	v_add3_u32 v2, v3, v2, 0x7fff
                                        ; implicit-def: $vgpr3
; %bb.3:
	s_and_not1_saveexec_b32 s0, s0
; %bb.4:
	v_and_b32_e32 v2, 0xffff, v3
	v_or_b32_e32 v4, 0x10000, v3
	s_delay_alu instid0(VALU_DEP_2) | instskip(NEXT) | instid1(VALU_DEP_2)
	v_cmp_eq_u32_e32 vcc_lo, 0, v2
	v_cndmask_b32_e32 v2, v4, v3, vcc_lo
; %bb.5:
	s_or_b32 exec_lo, exec_lo, s0
	v_lshlrev_b64 v[0:1], 1, v[0:1]
	s_delay_alu instid0(VALU_DEP_1) | instskip(NEXT) | instid1(VALU_DEP_2)
	v_add_co_u32 v0, vcc_lo, s4, v0
	v_add_co_ci_u32_e32 v1, vcc_lo, s5, v1, vcc_lo
	global_store_d16_hi_b16 v[0:1], v2, off
.LBB38_6:
	s_nop 0
	s_sendmsg sendmsg(MSG_DEALLOC_VGPRS)
	s_endpgm
	.section	.rodata,"a",@progbits
	.p2align	6, 0x0
	.amdhsa_kernel _Z11fill_kernelI12hip_bfloat16Z21hipblaslt_init_deviceIS0_Ev8ABC_dims24hipblaslt_initializationbPT_mmmmmEUlmE4_EvS5_mmT0_
		.amdhsa_group_segment_fixed_size 0
		.amdhsa_private_segment_fixed_size 0
		.amdhsa_kernarg_size 288
		.amdhsa_user_sgpr_count 15
		.amdhsa_user_sgpr_dispatch_ptr 0
		.amdhsa_user_sgpr_queue_ptr 0
		.amdhsa_user_sgpr_kernarg_segment_ptr 1
		.amdhsa_user_sgpr_dispatch_id 0
		.amdhsa_user_sgpr_private_segment_size 0
		.amdhsa_wavefront_size32 1
		.amdhsa_uses_dynamic_stack 0
		.amdhsa_enable_private_segment 0
		.amdhsa_system_sgpr_workgroup_id_x 1
		.amdhsa_system_sgpr_workgroup_id_y 0
		.amdhsa_system_sgpr_workgroup_id_z 0
		.amdhsa_system_sgpr_workgroup_info 0
		.amdhsa_system_vgpr_workitem_id 0
		.amdhsa_next_free_vgpr 12
		.amdhsa_next_free_sgpr 16
		.amdhsa_reserve_vcc 1
		.amdhsa_float_round_mode_32 0
		.amdhsa_float_round_mode_16_64 0
		.amdhsa_float_denorm_mode_32 3
		.amdhsa_float_denorm_mode_16_64 3
		.amdhsa_dx10_clamp 1
		.amdhsa_ieee_mode 1
		.amdhsa_fp16_overflow 0
		.amdhsa_workgroup_processor_mode 1
		.amdhsa_memory_ordered 1
		.amdhsa_forward_progress 0
		.amdhsa_shared_vgpr_count 0
		.amdhsa_exception_fp_ieee_invalid_op 0
		.amdhsa_exception_fp_denorm_src 0
		.amdhsa_exception_fp_ieee_div_zero 0
		.amdhsa_exception_fp_ieee_overflow 0
		.amdhsa_exception_fp_ieee_underflow 0
		.amdhsa_exception_fp_ieee_inexact 0
		.amdhsa_exception_int_div_zero 0
	.end_amdhsa_kernel
	.section	.text._Z11fill_kernelI12hip_bfloat16Z21hipblaslt_init_deviceIS0_Ev8ABC_dims24hipblaslt_initializationbPT_mmmmmEUlmE4_EvS5_mmT0_,"axG",@progbits,_Z11fill_kernelI12hip_bfloat16Z21hipblaslt_init_deviceIS0_Ev8ABC_dims24hipblaslt_initializationbPT_mmmmmEUlmE4_EvS5_mmT0_,comdat
.Lfunc_end38:
	.size	_Z11fill_kernelI12hip_bfloat16Z21hipblaslt_init_deviceIS0_Ev8ABC_dims24hipblaslt_initializationbPT_mmmmmEUlmE4_EvS5_mmT0_, .Lfunc_end38-_Z11fill_kernelI12hip_bfloat16Z21hipblaslt_init_deviceIS0_Ev8ABC_dims24hipblaslt_initializationbPT_mmmmmEUlmE4_EvS5_mmT0_
                                        ; -- End function
	.section	.AMDGPU.csdata,"",@progbits
; Kernel info:
; codeLenInByte = 596
; NumSgprs: 18
; NumVgprs: 12
; ScratchSize: 0
; MemoryBound: 0
; FloatMode: 240
; IeeeMode: 1
; LDSByteSize: 0 bytes/workgroup (compile time only)
; SGPRBlocks: 2
; VGPRBlocks: 1
; NumSGPRsForWavesPerEU: 18
; NumVGPRsForWavesPerEU: 12
; Occupancy: 16
; WaveLimiterHint : 0
; COMPUTE_PGM_RSRC2:SCRATCH_EN: 0
; COMPUTE_PGM_RSRC2:USER_SGPR: 15
; COMPUTE_PGM_RSRC2:TRAP_HANDLER: 0
; COMPUTE_PGM_RSRC2:TGID_X_EN: 1
; COMPUTE_PGM_RSRC2:TGID_Y_EN: 0
; COMPUTE_PGM_RSRC2:TGID_Z_EN: 0
; COMPUTE_PGM_RSRC2:TIDIG_COMP_CNT: 0
	.section	.text._Z11fill_kernelI12hip_bfloat16Z21hipblaslt_init_deviceIS0_Ev8ABC_dims24hipblaslt_initializationbPT_mmmmmEUlmE5_EvS5_mmT0_,"axG",@progbits,_Z11fill_kernelI12hip_bfloat16Z21hipblaslt_init_deviceIS0_Ev8ABC_dims24hipblaslt_initializationbPT_mmmmmEUlmE5_EvS5_mmT0_,comdat
	.protected	_Z11fill_kernelI12hip_bfloat16Z21hipblaslt_init_deviceIS0_Ev8ABC_dims24hipblaslt_initializationbPT_mmmmmEUlmE5_EvS5_mmT0_ ; -- Begin function _Z11fill_kernelI12hip_bfloat16Z21hipblaslt_init_deviceIS0_Ev8ABC_dims24hipblaslt_initializationbPT_mmmmmEUlmE5_EvS5_mmT0_
	.globl	_Z11fill_kernelI12hip_bfloat16Z21hipblaslt_init_deviceIS0_Ev8ABC_dims24hipblaslt_initializationbPT_mmmmmEUlmE5_EvS5_mmT0_
	.p2align	8
	.type	_Z11fill_kernelI12hip_bfloat16Z21hipblaslt_init_deviceIS0_Ev8ABC_dims24hipblaslt_initializationbPT_mmmmmEUlmE5_EvS5_mmT0_,@function
_Z11fill_kernelI12hip_bfloat16Z21hipblaslt_init_deviceIS0_Ev8ABC_dims24hipblaslt_initializationbPT_mmmmmEUlmE5_EvS5_mmT0_: ; @_Z11fill_kernelI12hip_bfloat16Z21hipblaslt_init_deviceIS0_Ev8ABC_dims24hipblaslt_initializationbPT_mmmmmEUlmE5_EvS5_mmT0_
; %bb.0:
	s_clause 0x1
	s_load_b32 s2, s[0:1], 0x2c
	s_load_b128 s[4:7], s[0:1], 0x0
	s_waitcnt lgkmcnt(0)
	s_and_b32 s2, s2, 0xffff
	s_delay_alu instid0(SALU_CYCLE_1) | instskip(SKIP_2) | instid1(VALU_DEP_1)
	v_mad_u64_u32 v[1:2], null, s15, s2, v[0:1]
	v_mov_b32_e32 v2, 0
	s_mov_b32 s2, exec_lo
	v_cmpx_gt_u64_e64 s[6:7], v[1:2]
	s_cbranch_execz .LBB39_2
; %bb.1:
	s_load_b64 s[0:1], s[0:1], 0x10
	v_lshlrev_b64 v[0:1], 1, v[1:2]
	v_mov_b32_e32 v2, 0x477f
	s_waitcnt lgkmcnt(0)
	s_lshl_b64 s[0:1], s[0:1], 1
	s_delay_alu instid0(SALU_CYCLE_1)
	s_add_u32 s0, s0, s4
	s_addc_u32 s1, s1, s5
	v_add_co_u32 v0, vcc_lo, s0, v0
	v_add_co_ci_u32_e32 v1, vcc_lo, s1, v1, vcc_lo
	global_store_b16 v[0:1], v2, off
.LBB39_2:
	s_nop 0
	s_sendmsg sendmsg(MSG_DEALLOC_VGPRS)
	s_endpgm
	.section	.rodata,"a",@progbits
	.p2align	6, 0x0
	.amdhsa_kernel _Z11fill_kernelI12hip_bfloat16Z21hipblaslt_init_deviceIS0_Ev8ABC_dims24hipblaslt_initializationbPT_mmmmmEUlmE5_EvS5_mmT0_
		.amdhsa_group_segment_fixed_size 0
		.amdhsa_private_segment_fixed_size 0
		.amdhsa_kernarg_size 288
		.amdhsa_user_sgpr_count 15
		.amdhsa_user_sgpr_dispatch_ptr 0
		.amdhsa_user_sgpr_queue_ptr 0
		.amdhsa_user_sgpr_kernarg_segment_ptr 1
		.amdhsa_user_sgpr_dispatch_id 0
		.amdhsa_user_sgpr_private_segment_size 0
		.amdhsa_wavefront_size32 1
		.amdhsa_uses_dynamic_stack 0
		.amdhsa_enable_private_segment 0
		.amdhsa_system_sgpr_workgroup_id_x 1
		.amdhsa_system_sgpr_workgroup_id_y 0
		.amdhsa_system_sgpr_workgroup_id_z 0
		.amdhsa_system_sgpr_workgroup_info 0
		.amdhsa_system_vgpr_workitem_id 0
		.amdhsa_next_free_vgpr 3
		.amdhsa_next_free_sgpr 16
		.amdhsa_reserve_vcc 1
		.amdhsa_float_round_mode_32 0
		.amdhsa_float_round_mode_16_64 0
		.amdhsa_float_denorm_mode_32 3
		.amdhsa_float_denorm_mode_16_64 3
		.amdhsa_dx10_clamp 1
		.amdhsa_ieee_mode 1
		.amdhsa_fp16_overflow 0
		.amdhsa_workgroup_processor_mode 1
		.amdhsa_memory_ordered 1
		.amdhsa_forward_progress 0
		.amdhsa_shared_vgpr_count 0
		.amdhsa_exception_fp_ieee_invalid_op 0
		.amdhsa_exception_fp_denorm_src 0
		.amdhsa_exception_fp_ieee_div_zero 0
		.amdhsa_exception_fp_ieee_overflow 0
		.amdhsa_exception_fp_ieee_underflow 0
		.amdhsa_exception_fp_ieee_inexact 0
		.amdhsa_exception_int_div_zero 0
	.end_amdhsa_kernel
	.section	.text._Z11fill_kernelI12hip_bfloat16Z21hipblaslt_init_deviceIS0_Ev8ABC_dims24hipblaslt_initializationbPT_mmmmmEUlmE5_EvS5_mmT0_,"axG",@progbits,_Z11fill_kernelI12hip_bfloat16Z21hipblaslt_init_deviceIS0_Ev8ABC_dims24hipblaslt_initializationbPT_mmmmmEUlmE5_EvS5_mmT0_,comdat
.Lfunc_end39:
	.size	_Z11fill_kernelI12hip_bfloat16Z21hipblaslt_init_deviceIS0_Ev8ABC_dims24hipblaslt_initializationbPT_mmmmmEUlmE5_EvS5_mmT0_, .Lfunc_end39-_Z11fill_kernelI12hip_bfloat16Z21hipblaslt_init_deviceIS0_Ev8ABC_dims24hipblaslt_initializationbPT_mmmmmEUlmE5_EvS5_mmT0_
                                        ; -- End function
	.section	.AMDGPU.csdata,"",@progbits
; Kernel info:
; codeLenInByte = 140
; NumSgprs: 18
; NumVgprs: 3
; ScratchSize: 0
; MemoryBound: 0
; FloatMode: 240
; IeeeMode: 1
; LDSByteSize: 0 bytes/workgroup (compile time only)
; SGPRBlocks: 2
; VGPRBlocks: 0
; NumSGPRsForWavesPerEU: 18
; NumVGPRsForWavesPerEU: 3
; Occupancy: 16
; WaveLimiterHint : 0
; COMPUTE_PGM_RSRC2:SCRATCH_EN: 0
; COMPUTE_PGM_RSRC2:USER_SGPR: 15
; COMPUTE_PGM_RSRC2:TRAP_HANDLER: 0
; COMPUTE_PGM_RSRC2:TGID_X_EN: 1
; COMPUTE_PGM_RSRC2:TGID_Y_EN: 0
; COMPUTE_PGM_RSRC2:TGID_Z_EN: 0
; COMPUTE_PGM_RSRC2:TIDIG_COMP_CNT: 0
	.section	.text._Z11fill_kernelI12hip_bfloat16Z21hipblaslt_init_deviceIS0_Ev8ABC_dims24hipblaslt_initializationbPT_mmmmmEUlmE6_EvS5_mmT0_,"axG",@progbits,_Z11fill_kernelI12hip_bfloat16Z21hipblaslt_init_deviceIS0_Ev8ABC_dims24hipblaslt_initializationbPT_mmmmmEUlmE6_EvS5_mmT0_,comdat
	.protected	_Z11fill_kernelI12hip_bfloat16Z21hipblaslt_init_deviceIS0_Ev8ABC_dims24hipblaslt_initializationbPT_mmmmmEUlmE6_EvS5_mmT0_ ; -- Begin function _Z11fill_kernelI12hip_bfloat16Z21hipblaslt_init_deviceIS0_Ev8ABC_dims24hipblaslt_initializationbPT_mmmmmEUlmE6_EvS5_mmT0_
	.globl	_Z11fill_kernelI12hip_bfloat16Z21hipblaslt_init_deviceIS0_Ev8ABC_dims24hipblaslt_initializationbPT_mmmmmEUlmE6_EvS5_mmT0_
	.p2align	8
	.type	_Z11fill_kernelI12hip_bfloat16Z21hipblaslt_init_deviceIS0_Ev8ABC_dims24hipblaslt_initializationbPT_mmmmmEUlmE6_EvS5_mmT0_,@function
_Z11fill_kernelI12hip_bfloat16Z21hipblaslt_init_deviceIS0_Ev8ABC_dims24hipblaslt_initializationbPT_mmmmmEUlmE6_EvS5_mmT0_: ; @_Z11fill_kernelI12hip_bfloat16Z21hipblaslt_init_deviceIS0_Ev8ABC_dims24hipblaslt_initializationbPT_mmmmmEUlmE6_EvS5_mmT0_
; %bb.0:
	s_clause 0x1
	s_load_b32 s2, s[0:1], 0x2c
	s_load_b128 s[4:7], s[0:1], 0x0
	s_waitcnt lgkmcnt(0)
	s_and_b32 s2, s2, 0xffff
	s_delay_alu instid0(SALU_CYCLE_1) | instskip(SKIP_2) | instid1(VALU_DEP_1)
	v_mad_u64_u32 v[1:2], null, s15, s2, v[0:1]
	v_mov_b32_e32 v2, 0
	s_mov_b32 s2, exec_lo
	v_cmpx_gt_u64_e64 s[6:7], v[1:2]
	s_cbranch_execz .LBB40_2
; %bb.1:
	s_load_b64 s[0:1], s[0:1], 0x10
	v_lshlrev_b64 v[0:1], 1, v[1:2]
	v_mov_b32_e32 v2, 0x387f
	s_waitcnt lgkmcnt(0)
	s_lshl_b64 s[0:1], s[0:1], 1
	s_delay_alu instid0(SALU_CYCLE_1)
	s_add_u32 s0, s0, s4
	s_addc_u32 s1, s1, s5
	v_add_co_u32 v0, vcc_lo, s0, v0
	v_add_co_ci_u32_e32 v1, vcc_lo, s1, v1, vcc_lo
	global_store_b16 v[0:1], v2, off
.LBB40_2:
	s_nop 0
	s_sendmsg sendmsg(MSG_DEALLOC_VGPRS)
	s_endpgm
	.section	.rodata,"a",@progbits
	.p2align	6, 0x0
	.amdhsa_kernel _Z11fill_kernelI12hip_bfloat16Z21hipblaslt_init_deviceIS0_Ev8ABC_dims24hipblaslt_initializationbPT_mmmmmEUlmE6_EvS5_mmT0_
		.amdhsa_group_segment_fixed_size 0
		.amdhsa_private_segment_fixed_size 0
		.amdhsa_kernarg_size 288
		.amdhsa_user_sgpr_count 15
		.amdhsa_user_sgpr_dispatch_ptr 0
		.amdhsa_user_sgpr_queue_ptr 0
		.amdhsa_user_sgpr_kernarg_segment_ptr 1
		.amdhsa_user_sgpr_dispatch_id 0
		.amdhsa_user_sgpr_private_segment_size 0
		.amdhsa_wavefront_size32 1
		.amdhsa_uses_dynamic_stack 0
		.amdhsa_enable_private_segment 0
		.amdhsa_system_sgpr_workgroup_id_x 1
		.amdhsa_system_sgpr_workgroup_id_y 0
		.amdhsa_system_sgpr_workgroup_id_z 0
		.amdhsa_system_sgpr_workgroup_info 0
		.amdhsa_system_vgpr_workitem_id 0
		.amdhsa_next_free_vgpr 3
		.amdhsa_next_free_sgpr 16
		.amdhsa_reserve_vcc 1
		.amdhsa_float_round_mode_32 0
		.amdhsa_float_round_mode_16_64 0
		.amdhsa_float_denorm_mode_32 3
		.amdhsa_float_denorm_mode_16_64 3
		.amdhsa_dx10_clamp 1
		.amdhsa_ieee_mode 1
		.amdhsa_fp16_overflow 0
		.amdhsa_workgroup_processor_mode 1
		.amdhsa_memory_ordered 1
		.amdhsa_forward_progress 0
		.amdhsa_shared_vgpr_count 0
		.amdhsa_exception_fp_ieee_invalid_op 0
		.amdhsa_exception_fp_denorm_src 0
		.amdhsa_exception_fp_ieee_div_zero 0
		.amdhsa_exception_fp_ieee_overflow 0
		.amdhsa_exception_fp_ieee_underflow 0
		.amdhsa_exception_fp_ieee_inexact 0
		.amdhsa_exception_int_div_zero 0
	.end_amdhsa_kernel
	.section	.text._Z11fill_kernelI12hip_bfloat16Z21hipblaslt_init_deviceIS0_Ev8ABC_dims24hipblaslt_initializationbPT_mmmmmEUlmE6_EvS5_mmT0_,"axG",@progbits,_Z11fill_kernelI12hip_bfloat16Z21hipblaslt_init_deviceIS0_Ev8ABC_dims24hipblaslt_initializationbPT_mmmmmEUlmE6_EvS5_mmT0_,comdat
.Lfunc_end40:
	.size	_Z11fill_kernelI12hip_bfloat16Z21hipblaslt_init_deviceIS0_Ev8ABC_dims24hipblaslt_initializationbPT_mmmmmEUlmE6_EvS5_mmT0_, .Lfunc_end40-_Z11fill_kernelI12hip_bfloat16Z21hipblaslt_init_deviceIS0_Ev8ABC_dims24hipblaslt_initializationbPT_mmmmmEUlmE6_EvS5_mmT0_
                                        ; -- End function
	.section	.AMDGPU.csdata,"",@progbits
; Kernel info:
; codeLenInByte = 140
; NumSgprs: 18
; NumVgprs: 3
; ScratchSize: 0
; MemoryBound: 0
; FloatMode: 240
; IeeeMode: 1
; LDSByteSize: 0 bytes/workgroup (compile time only)
; SGPRBlocks: 2
; VGPRBlocks: 0
; NumSGPRsForWavesPerEU: 18
; NumVGPRsForWavesPerEU: 3
; Occupancy: 16
; WaveLimiterHint : 0
; COMPUTE_PGM_RSRC2:SCRATCH_EN: 0
; COMPUTE_PGM_RSRC2:USER_SGPR: 15
; COMPUTE_PGM_RSRC2:TRAP_HANDLER: 0
; COMPUTE_PGM_RSRC2:TGID_X_EN: 1
; COMPUTE_PGM_RSRC2:TGID_Y_EN: 0
; COMPUTE_PGM_RSRC2:TGID_Z_EN: 0
; COMPUTE_PGM_RSRC2:TIDIG_COMP_CNT: 0
	.section	.text._Z11fill_kernelI12hip_bfloat16Z21hipblaslt_init_deviceIS0_Ev8ABC_dims24hipblaslt_initializationbPT_mmmmmEUlmE7_EvS5_mmT0_,"axG",@progbits,_Z11fill_kernelI12hip_bfloat16Z21hipblaslt_init_deviceIS0_Ev8ABC_dims24hipblaslt_initializationbPT_mmmmmEUlmE7_EvS5_mmT0_,comdat
	.protected	_Z11fill_kernelI12hip_bfloat16Z21hipblaslt_init_deviceIS0_Ev8ABC_dims24hipblaslt_initializationbPT_mmmmmEUlmE7_EvS5_mmT0_ ; -- Begin function _Z11fill_kernelI12hip_bfloat16Z21hipblaslt_init_deviceIS0_Ev8ABC_dims24hipblaslt_initializationbPT_mmmmmEUlmE7_EvS5_mmT0_
	.globl	_Z11fill_kernelI12hip_bfloat16Z21hipblaslt_init_deviceIS0_Ev8ABC_dims24hipblaslt_initializationbPT_mmmmmEUlmE7_EvS5_mmT0_
	.p2align	8
	.type	_Z11fill_kernelI12hip_bfloat16Z21hipblaslt_init_deviceIS0_Ev8ABC_dims24hipblaslt_initializationbPT_mmmmmEUlmE7_EvS5_mmT0_,@function
_Z11fill_kernelI12hip_bfloat16Z21hipblaslt_init_deviceIS0_Ev8ABC_dims24hipblaslt_initializationbPT_mmmmmEUlmE7_EvS5_mmT0_: ; @_Z11fill_kernelI12hip_bfloat16Z21hipblaslt_init_deviceIS0_Ev8ABC_dims24hipblaslt_initializationbPT_mmmmmEUlmE7_EvS5_mmT0_
; %bb.0:
	s_clause 0x1
	s_load_b32 s2, s[0:1], 0x2c
	s_load_b128 s[4:7], s[0:1], 0x0
	s_waitcnt lgkmcnt(0)
	s_and_b32 s2, s2, 0xffff
	s_delay_alu instid0(SALU_CYCLE_1) | instskip(SKIP_2) | instid1(VALU_DEP_1)
	v_mad_u64_u32 v[1:2], null, s15, s2, v[0:1]
	v_mov_b32_e32 v2, 0
	s_mov_b32 s2, exec_lo
	v_cmpx_gt_u64_e64 s[6:7], v[1:2]
	s_cbranch_execz .LBB41_6
; %bb.1:
	s_load_b64 s[0:1], s[0:1], 0x10
	s_mov_b32 s2, 0x19660d
	s_waitcnt lgkmcnt(0)
	v_add_co_u32 v0, s0, v1, s0
	s_delay_alu instid0(VALU_DEP_1) | instskip(NEXT) | instid1(VALU_DEP_2)
	v_add_co_ci_u32_e64 v1, null, 0, s1, s0
	v_mad_u64_u32 v[2:3], null, v0, s2, 0x3c6ef35f
	s_delay_alu instid0(VALU_DEP_1) | instskip(NEXT) | instid1(VALU_DEP_1)
	v_mad_u64_u32 v[4:5], null, 0x19660d, v1, v[3:4]
	v_mov_b32_e32 v3, v4
	s_delay_alu instid0(VALU_DEP_1) | instskip(NEXT) | instid1(VALU_DEP_1)
	v_lshlrev_b64 v[4:5], 13, v[2:3]
	v_xor_b32_e32 v3, v5, v3
	s_delay_alu instid0(VALU_DEP_2) | instskip(NEXT) | instid1(VALU_DEP_1)
	v_xor_b32_e32 v2, v4, v2
	v_lshrrev_b64 v[4:5], 17, v[2:3]
	s_delay_alu instid0(VALU_DEP_1) | instskip(NEXT) | instid1(VALU_DEP_2)
	v_xor_b32_e32 v3, v5, v3
	v_xor_b32_e32 v2, v4, v2
	s_delay_alu instid0(VALU_DEP_1) | instskip(NEXT) | instid1(VALU_DEP_1)
	v_lshlrev_b64 v[4:5], 5, v[2:3]
	v_xor_b32_e32 v3, v5, v3
	s_delay_alu instid0(VALU_DEP_2) | instskip(NEXT) | instid1(VALU_DEP_1)
	v_xor_b32_e32 v2, v4, v2
	v_lshlrev_b64 v[4:5], 13, v[2:3]
	s_delay_alu instid0(VALU_DEP_1) | instskip(NEXT) | instid1(VALU_DEP_2)
	v_xor_b32_e32 v3, v5, v3
	v_xor_b32_e32 v2, v4, v2
	s_delay_alu instid0(VALU_DEP_1) | instskip(NEXT) | instid1(VALU_DEP_1)
	v_lshrrev_b64 v[4:5], 17, v[2:3]
	v_xor_b32_e32 v3, v5, v3
	s_delay_alu instid0(VALU_DEP_2) | instskip(NEXT) | instid1(VALU_DEP_1)
	v_xor_b32_e32 v2, v4, v2
	v_lshlrev_b64 v[4:5], 5, v[2:3]
	s_delay_alu instid0(VALU_DEP_1) | instskip(NEXT) | instid1(VALU_DEP_2)
	v_xor_b32_e32 v3, v5, v3
	v_xor_b32_e32 v2, v4, v2
	s_delay_alu instid0(VALU_DEP_1) | instskip(NEXT) | instid1(VALU_DEP_1)
	v_lshlrev_b64 v[4:5], 13, v[2:3]
	v_xor_b32_e32 v3, v5, v3
	s_delay_alu instid0(VALU_DEP_2) | instskip(NEXT) | instid1(VALU_DEP_1)
	v_xor_b32_e32 v2, v4, v2
	v_alignbit_b32 v3, v3, v2, 17
	s_delay_alu instid0(VALU_DEP_1) | instskip(NEXT) | instid1(VALU_DEP_1)
	v_xor_b32_e32 v2, v3, v2
	v_lshlrev_b32_e32 v3, 5, v2
	s_delay_alu instid0(VALU_DEP_1) | instskip(NEXT) | instid1(VALU_DEP_1)
	v_xor_b32_e32 v2, v3, v2
	v_mul_hi_u32 v3, 0xcccccccd, v2
	s_delay_alu instid0(VALU_DEP_1) | instskip(NEXT) | instid1(VALU_DEP_1)
	v_lshrrev_b32_e32 v3, 3, v3
	v_mul_lo_u32 v3, v3, 10
	s_delay_alu instid0(VALU_DEP_1) | instskip(NEXT) | instid1(VALU_DEP_1)
	v_sub_nc_u32_e32 v2, v2, v3
	v_add_nc_u32_e32 v2, 1, v2
	s_delay_alu instid0(VALU_DEP_1) | instskip(NEXT) | instid1(VALU_DEP_1)
	v_cvt_f32_u32_e32 v3, v2
	v_and_b32_e32 v2, 0x7f800000, v3
	s_delay_alu instid0(VALU_DEP_1) | instskip(SKIP_1) | instid1(SALU_CYCLE_1)
	v_cmp_ne_u32_e32 vcc_lo, 0x7f800000, v2
                                        ; implicit-def: $vgpr2
	s_and_saveexec_b32 s0, vcc_lo
	s_xor_b32 s0, exec_lo, s0
; %bb.2:
	v_bfe_u32 v2, v3, 16, 1
	s_delay_alu instid0(VALU_DEP_1)
	v_add3_u32 v2, v3, v2, 0x7fff
                                        ; implicit-def: $vgpr3
; %bb.3:
	s_and_not1_saveexec_b32 s0, s0
; %bb.4:
	v_and_b32_e32 v2, 0xffff, v3
	v_or_b32_e32 v4, 0x10000, v3
	s_delay_alu instid0(VALU_DEP_2) | instskip(NEXT) | instid1(VALU_DEP_2)
	v_cmp_eq_u32_e32 vcc_lo, 0, v2
	v_cndmask_b32_e32 v2, v4, v3, vcc_lo
; %bb.5:
	s_or_b32 exec_lo, exec_lo, s0
	v_lshlrev_b64 v[0:1], 1, v[0:1]
	s_delay_alu instid0(VALU_DEP_1) | instskip(NEXT) | instid1(VALU_DEP_2)
	v_add_co_u32 v0, vcc_lo, s4, v0
	v_add_co_ci_u32_e32 v1, vcc_lo, s5, v1, vcc_lo
	global_store_d16_hi_b16 v[0:1], v2, off
.LBB41_6:
	s_nop 0
	s_sendmsg sendmsg(MSG_DEALLOC_VGPRS)
	s_endpgm
	.section	.rodata,"a",@progbits
	.p2align	6, 0x0
	.amdhsa_kernel _Z11fill_kernelI12hip_bfloat16Z21hipblaslt_init_deviceIS0_Ev8ABC_dims24hipblaslt_initializationbPT_mmmmmEUlmE7_EvS5_mmT0_
		.amdhsa_group_segment_fixed_size 0
		.amdhsa_private_segment_fixed_size 0
		.amdhsa_kernarg_size 288
		.amdhsa_user_sgpr_count 15
		.amdhsa_user_sgpr_dispatch_ptr 0
		.amdhsa_user_sgpr_queue_ptr 0
		.amdhsa_user_sgpr_kernarg_segment_ptr 1
		.amdhsa_user_sgpr_dispatch_id 0
		.amdhsa_user_sgpr_private_segment_size 0
		.amdhsa_wavefront_size32 1
		.amdhsa_uses_dynamic_stack 0
		.amdhsa_enable_private_segment 0
		.amdhsa_system_sgpr_workgroup_id_x 1
		.amdhsa_system_sgpr_workgroup_id_y 0
		.amdhsa_system_sgpr_workgroup_id_z 0
		.amdhsa_system_sgpr_workgroup_info 0
		.amdhsa_system_vgpr_workitem_id 0
		.amdhsa_next_free_vgpr 6
		.amdhsa_next_free_sgpr 16
		.amdhsa_reserve_vcc 1
		.amdhsa_float_round_mode_32 0
		.amdhsa_float_round_mode_16_64 0
		.amdhsa_float_denorm_mode_32 3
		.amdhsa_float_denorm_mode_16_64 3
		.amdhsa_dx10_clamp 1
		.amdhsa_ieee_mode 1
		.amdhsa_fp16_overflow 0
		.amdhsa_workgroup_processor_mode 1
		.amdhsa_memory_ordered 1
		.amdhsa_forward_progress 0
		.amdhsa_shared_vgpr_count 0
		.amdhsa_exception_fp_ieee_invalid_op 0
		.amdhsa_exception_fp_denorm_src 0
		.amdhsa_exception_fp_ieee_div_zero 0
		.amdhsa_exception_fp_ieee_overflow 0
		.amdhsa_exception_fp_ieee_underflow 0
		.amdhsa_exception_fp_ieee_inexact 0
		.amdhsa_exception_int_div_zero 0
	.end_amdhsa_kernel
	.section	.text._Z11fill_kernelI12hip_bfloat16Z21hipblaslt_init_deviceIS0_Ev8ABC_dims24hipblaslt_initializationbPT_mmmmmEUlmE7_EvS5_mmT0_,"axG",@progbits,_Z11fill_kernelI12hip_bfloat16Z21hipblaslt_init_deviceIS0_Ev8ABC_dims24hipblaslt_initializationbPT_mmmmmEUlmE7_EvS5_mmT0_,comdat
.Lfunc_end41:
	.size	_Z11fill_kernelI12hip_bfloat16Z21hipblaslt_init_deviceIS0_Ev8ABC_dims24hipblaslt_initializationbPT_mmmmmEUlmE7_EvS5_mmT0_, .Lfunc_end41-_Z11fill_kernelI12hip_bfloat16Z21hipblaslt_init_deviceIS0_Ev8ABC_dims24hipblaslt_initializationbPT_mmmmmEUlmE7_EvS5_mmT0_
                                        ; -- End function
	.section	.AMDGPU.csdata,"",@progbits
; Kernel info:
; codeLenInByte = 500
; NumSgprs: 18
; NumVgprs: 6
; ScratchSize: 0
; MemoryBound: 0
; FloatMode: 240
; IeeeMode: 1
; LDSByteSize: 0 bytes/workgroup (compile time only)
; SGPRBlocks: 2
; VGPRBlocks: 0
; NumSGPRsForWavesPerEU: 18
; NumVGPRsForWavesPerEU: 6
; Occupancy: 16
; WaveLimiterHint : 0
; COMPUTE_PGM_RSRC2:SCRATCH_EN: 0
; COMPUTE_PGM_RSRC2:USER_SGPR: 15
; COMPUTE_PGM_RSRC2:TRAP_HANDLER: 0
; COMPUTE_PGM_RSRC2:TGID_X_EN: 1
; COMPUTE_PGM_RSRC2:TGID_Y_EN: 0
; COMPUTE_PGM_RSRC2:TGID_Z_EN: 0
; COMPUTE_PGM_RSRC2:TIDIG_COMP_CNT: 0
	.section	.text._Z11fill_kernelI12hip_bfloat16Z21hipblaslt_init_deviceIS0_Ev8ABC_dims24hipblaslt_initializationbPT_mmmmmEUlmE8_EvS5_mmT0_,"axG",@progbits,_Z11fill_kernelI12hip_bfloat16Z21hipblaslt_init_deviceIS0_Ev8ABC_dims24hipblaslt_initializationbPT_mmmmmEUlmE8_EvS5_mmT0_,comdat
	.protected	_Z11fill_kernelI12hip_bfloat16Z21hipblaslt_init_deviceIS0_Ev8ABC_dims24hipblaslt_initializationbPT_mmmmmEUlmE8_EvS5_mmT0_ ; -- Begin function _Z11fill_kernelI12hip_bfloat16Z21hipblaslt_init_deviceIS0_Ev8ABC_dims24hipblaslt_initializationbPT_mmmmmEUlmE8_EvS5_mmT0_
	.globl	_Z11fill_kernelI12hip_bfloat16Z21hipblaslt_init_deviceIS0_Ev8ABC_dims24hipblaslt_initializationbPT_mmmmmEUlmE8_EvS5_mmT0_
	.p2align	8
	.type	_Z11fill_kernelI12hip_bfloat16Z21hipblaslt_init_deviceIS0_Ev8ABC_dims24hipblaslt_initializationbPT_mmmmmEUlmE8_EvS5_mmT0_,@function
_Z11fill_kernelI12hip_bfloat16Z21hipblaslt_init_deviceIS0_Ev8ABC_dims24hipblaslt_initializationbPT_mmmmmEUlmE8_EvS5_mmT0_: ; @_Z11fill_kernelI12hip_bfloat16Z21hipblaslt_init_deviceIS0_Ev8ABC_dims24hipblaslt_initializationbPT_mmmmmEUlmE8_EvS5_mmT0_
; %bb.0:
	s_clause 0x1
	s_load_b32 s2, s[0:1], 0x2c
	s_load_b128 s[4:7], s[0:1], 0x0
	s_waitcnt lgkmcnt(0)
	s_and_b32 s2, s2, 0xffff
	s_delay_alu instid0(SALU_CYCLE_1) | instskip(SKIP_2) | instid1(VALU_DEP_1)
	v_mad_u64_u32 v[1:2], null, s15, s2, v[0:1]
	v_mov_b32_e32 v2, 0
	s_mov_b32 s2, exec_lo
	v_cmpx_gt_u64_e64 s[6:7], v[1:2]
	s_cbranch_execz .LBB42_2
; %bb.1:
	s_load_b64 s[0:1], s[0:1], 0x10
	v_lshlrev_b64 v[0:1], 1, v[1:2]
	s_waitcnt lgkmcnt(0)
	s_lshl_b64 s[0:1], s[0:1], 1
	s_delay_alu instid0(SALU_CYCLE_1) | instskip(SKIP_1) | instid1(VALU_DEP_1)
	s_add_u32 s0, s0, s4
	s_addc_u32 s1, s1, s5
	v_add_co_u32 v0, vcc_lo, s0, v0
	v_add_co_ci_u32_e32 v1, vcc_lo, s1, v1, vcc_lo
	global_store_b16 v[0:1], v2, off
.LBB42_2:
	s_nop 0
	s_sendmsg sendmsg(MSG_DEALLOC_VGPRS)
	s_endpgm
	.section	.rodata,"a",@progbits
	.p2align	6, 0x0
	.amdhsa_kernel _Z11fill_kernelI12hip_bfloat16Z21hipblaslt_init_deviceIS0_Ev8ABC_dims24hipblaslt_initializationbPT_mmmmmEUlmE8_EvS5_mmT0_
		.amdhsa_group_segment_fixed_size 0
		.amdhsa_private_segment_fixed_size 0
		.amdhsa_kernarg_size 288
		.amdhsa_user_sgpr_count 15
		.amdhsa_user_sgpr_dispatch_ptr 0
		.amdhsa_user_sgpr_queue_ptr 0
		.amdhsa_user_sgpr_kernarg_segment_ptr 1
		.amdhsa_user_sgpr_dispatch_id 0
		.amdhsa_user_sgpr_private_segment_size 0
		.amdhsa_wavefront_size32 1
		.amdhsa_uses_dynamic_stack 0
		.amdhsa_enable_private_segment 0
		.amdhsa_system_sgpr_workgroup_id_x 1
		.amdhsa_system_sgpr_workgroup_id_y 0
		.amdhsa_system_sgpr_workgroup_id_z 0
		.amdhsa_system_sgpr_workgroup_info 0
		.amdhsa_system_vgpr_workitem_id 0
		.amdhsa_next_free_vgpr 3
		.amdhsa_next_free_sgpr 16
		.amdhsa_reserve_vcc 1
		.amdhsa_float_round_mode_32 0
		.amdhsa_float_round_mode_16_64 0
		.amdhsa_float_denorm_mode_32 3
		.amdhsa_float_denorm_mode_16_64 3
		.amdhsa_dx10_clamp 1
		.amdhsa_ieee_mode 1
		.amdhsa_fp16_overflow 0
		.amdhsa_workgroup_processor_mode 1
		.amdhsa_memory_ordered 1
		.amdhsa_forward_progress 0
		.amdhsa_shared_vgpr_count 0
		.amdhsa_exception_fp_ieee_invalid_op 0
		.amdhsa_exception_fp_denorm_src 0
		.amdhsa_exception_fp_ieee_div_zero 0
		.amdhsa_exception_fp_ieee_overflow 0
		.amdhsa_exception_fp_ieee_underflow 0
		.amdhsa_exception_fp_ieee_inexact 0
		.amdhsa_exception_int_div_zero 0
	.end_amdhsa_kernel
	.section	.text._Z11fill_kernelI12hip_bfloat16Z21hipblaslt_init_deviceIS0_Ev8ABC_dims24hipblaslt_initializationbPT_mmmmmEUlmE8_EvS5_mmT0_,"axG",@progbits,_Z11fill_kernelI12hip_bfloat16Z21hipblaslt_init_deviceIS0_Ev8ABC_dims24hipblaslt_initializationbPT_mmmmmEUlmE8_EvS5_mmT0_,comdat
.Lfunc_end42:
	.size	_Z11fill_kernelI12hip_bfloat16Z21hipblaslt_init_deviceIS0_Ev8ABC_dims24hipblaslt_initializationbPT_mmmmmEUlmE8_EvS5_mmT0_, .Lfunc_end42-_Z11fill_kernelI12hip_bfloat16Z21hipblaslt_init_deviceIS0_Ev8ABC_dims24hipblaslt_initializationbPT_mmmmmEUlmE8_EvS5_mmT0_
                                        ; -- End function
	.section	.AMDGPU.csdata,"",@progbits
; Kernel info:
; codeLenInByte = 132
; NumSgprs: 18
; NumVgprs: 3
; ScratchSize: 0
; MemoryBound: 0
; FloatMode: 240
; IeeeMode: 1
; LDSByteSize: 0 bytes/workgroup (compile time only)
; SGPRBlocks: 2
; VGPRBlocks: 0
; NumSGPRsForWavesPerEU: 18
; NumVGPRsForWavesPerEU: 3
; Occupancy: 16
; WaveLimiterHint : 0
; COMPUTE_PGM_RSRC2:SCRATCH_EN: 0
; COMPUTE_PGM_RSRC2:USER_SGPR: 15
; COMPUTE_PGM_RSRC2:TRAP_HANDLER: 0
; COMPUTE_PGM_RSRC2:TGID_X_EN: 1
; COMPUTE_PGM_RSRC2:TGID_Y_EN: 0
; COMPUTE_PGM_RSRC2:TGID_Z_EN: 0
; COMPUTE_PGM_RSRC2:TIDIG_COMP_CNT: 0
	.section	.text._Z11fill_kernelI12hip_bfloat16Z21hipblaslt_init_deviceIS0_Ev8ABC_dims24hipblaslt_initializationbPT_mmmmmEUlmE9_EvS5_mmT0_,"axG",@progbits,_Z11fill_kernelI12hip_bfloat16Z21hipblaslt_init_deviceIS0_Ev8ABC_dims24hipblaslt_initializationbPT_mmmmmEUlmE9_EvS5_mmT0_,comdat
	.protected	_Z11fill_kernelI12hip_bfloat16Z21hipblaslt_init_deviceIS0_Ev8ABC_dims24hipblaslt_initializationbPT_mmmmmEUlmE9_EvS5_mmT0_ ; -- Begin function _Z11fill_kernelI12hip_bfloat16Z21hipblaslt_init_deviceIS0_Ev8ABC_dims24hipblaslt_initializationbPT_mmmmmEUlmE9_EvS5_mmT0_
	.globl	_Z11fill_kernelI12hip_bfloat16Z21hipblaslt_init_deviceIS0_Ev8ABC_dims24hipblaslt_initializationbPT_mmmmmEUlmE9_EvS5_mmT0_
	.p2align	8
	.type	_Z11fill_kernelI12hip_bfloat16Z21hipblaslt_init_deviceIS0_Ev8ABC_dims24hipblaslt_initializationbPT_mmmmmEUlmE9_EvS5_mmT0_,@function
_Z11fill_kernelI12hip_bfloat16Z21hipblaslt_init_deviceIS0_Ev8ABC_dims24hipblaslt_initializationbPT_mmmmmEUlmE9_EvS5_mmT0_: ; @_Z11fill_kernelI12hip_bfloat16Z21hipblaslt_init_deviceIS0_Ev8ABC_dims24hipblaslt_initializationbPT_mmmmmEUlmE9_EvS5_mmT0_
; %bb.0:
	s_clause 0x1
	s_load_b32 s2, s[0:1], 0x2c
	s_load_b128 s[4:7], s[0:1], 0x0
	s_waitcnt lgkmcnt(0)
	s_and_b32 s2, s2, 0xffff
	s_delay_alu instid0(SALU_CYCLE_1) | instskip(SKIP_2) | instid1(VALU_DEP_1)
	v_mad_u64_u32 v[1:2], null, s15, s2, v[0:1]
	v_mov_b32_e32 v2, 0
	s_mov_b32 s2, exec_lo
	v_cmpx_gt_u64_e64 s[6:7], v[1:2]
	s_cbranch_execz .LBB43_10
; %bb.1:
	s_clause 0x1
	s_load_b64 s[2:3], s[0:1], 0x10
	s_load_b32 s0, s[0:1], 0x18
	s_waitcnt lgkmcnt(0)
	v_add_co_u32 v0, s1, v1, s2
	s_delay_alu instid0(VALU_DEP_1) | instskip(NEXT) | instid1(VALU_DEP_2)
	v_add_co_ci_u32_e64 v1, null, 0, s3, s1
	v_add_nc_u32_e32 v6, s0, v0
	s_mov_b32 s0, 0xb90ffb1d
	s_delay_alu instid0(VALU_DEP_1) | instid1(SALU_CYCLE_1)
	v_mad_u64_u32 v[2:3], null, v6, s0, 0xdc6d3ef
	v_mad_u64_u32 v[3:4], null, 0x10dcd, v6, 1
	s_mov_b32 s0, 0x6ab9d291
	s_delay_alu instid0(VALU_DEP_2) | instskip(NEXT) | instid1(VALU_DEP_2)
	v_lshrrev_b32_e32 v5, 2, v2
	v_lshlrev_b32_e32 v7, 4, v3
	s_delay_alu instid0(VALU_DEP_2) | instskip(SKIP_2) | instid1(VALU_DEP_2)
	v_xor_b32_e32 v2, v5, v2
	v_mad_u64_u32 v[4:5], null, v6, s0, 0xffffffffdfb3c992
	s_mov_b32 s0, exec_lo
	v_lshlrev_b32_e32 v5, 1, v2
	s_delay_alu instid0(VALU_DEP_2) | instskip(NEXT) | instid1(VALU_DEP_2)
	v_lshrrev_b32_e32 v8, 2, v4
	v_xor_b32_e32 v5, v7, v5
	s_delay_alu instid0(VALU_DEP_2) | instskip(NEXT) | instid1(VALU_DEP_2)
	v_xor_b32_e32 v7, v8, v4
	v_xor3_b32 v3, v5, v3, v2
                                        ; implicit-def: $vgpr5
	s_delay_alu instid0(VALU_DEP_2) | instskip(NEXT) | instid1(VALU_DEP_2)
	v_lshlrev_b32_e32 v2, 1, v7
	v_lshlrev_b32_e32 v4, 4, v3
	s_delay_alu instid0(VALU_DEP_1) | instskip(SKIP_1) | instid1(VALU_DEP_2)
	v_xor_b32_e32 v2, v2, v4
	v_xor_b32_e32 v4, 0x587c5, v6
                                        ; implicit-def: $vgpr6
	v_xor3_b32 v2, v2, v7, v3
	s_delay_alu instid0(VALU_DEP_1) | instskip(NEXT) | instid1(VALU_DEP_1)
	v_add3_u32 v2, v4, v2, 0xb0f8a
	v_cvt_f32_u32_e32 v2, v2
	s_delay_alu instid0(VALU_DEP_1) | instskip(NEXT) | instid1(VALU_DEP_1)
	v_mul_f32_e32 v2, 0x2f800000, v2
	v_mul_f32_e32 v2, 0x40c90fdb, v2
	s_delay_alu instid0(VALU_DEP_1)
	v_cmpx_ngt_f32_e32 0x48000000, v2
	s_xor_b32 s3, exec_lo, s0
	s_cbranch_execz .LBB43_3
; %bb.2:
	s_mov_b32 s0, 0x7fffff
	v_mov_b32_e32 v7, 0
	v_and_or_b32 v15, v2, s0, 0x800000
	v_lshrrev_b32_e32 v12, 23, v2
	s_delay_alu instid0(VALU_DEP_2) | instskip(NEXT) | instid1(VALU_DEP_2)
	v_mad_u64_u32 v[5:6], null, 0xfe5163ab, v15, 0
	v_add_nc_u32_e32 v13, 0xffffff88, v12
	s_delay_alu instid0(VALU_DEP_1) | instskip(NEXT) | instid1(VALU_DEP_3)
	v_cmp_lt_u32_e32 vcc_lo, 63, v13
	v_mad_u64_u32 v[8:9], null, 0x3c439041, v15, v[6:7]
	v_cndmask_b32_e64 v14, 0, 0xffffffc0, vcc_lo
	s_delay_alu instid0(VALU_DEP_2) | instskip(NEXT) | instid1(VALU_DEP_2)
	v_mov_b32_e32 v6, v9
	v_add_nc_u32_e32 v14, v14, v13
	s_delay_alu instid0(VALU_DEP_2) | instskip(NEXT) | instid1(VALU_DEP_2)
	v_mad_u64_u32 v[9:10], null, 0xdb629599, v15, v[6:7]
	v_cmp_lt_u32_e64 s0, 31, v14
	s_delay_alu instid0(VALU_DEP_1) | instskip(NEXT) | instid1(VALU_DEP_3)
	v_cndmask_b32_e64 v16, 0, 0xffffffe0, s0
	v_dual_mov_b32 v6, v10 :: v_dual_cndmask_b32 v5, v9, v5
	s_delay_alu instid0(VALU_DEP_2) | instskip(NEXT) | instid1(VALU_DEP_2)
	v_add_nc_u32_e32 v16, v16, v14
	v_mad_u64_u32 v[10:11], null, 0xf534ddc0, v15, v[6:7]
	s_delay_alu instid0(VALU_DEP_2) | instskip(NEXT) | instid1(VALU_DEP_2)
	v_cmp_lt_u32_e64 s1, 31, v16
	v_mov_b32_e32 v6, v11
	s_delay_alu instid0(VALU_DEP_3) | instskip(NEXT) | instid1(VALU_DEP_2)
	v_cndmask_b32_e32 v8, v10, v8, vcc_lo
	v_mad_u64_u32 v[11:12], null, 0xfc2757d1, v15, v[6:7]
	s_delay_alu instid0(VALU_DEP_2) | instskip(NEXT) | instid1(VALU_DEP_2)
	v_cndmask_b32_e64 v5, v8, v5, s0
	v_mov_b32_e32 v6, v12
	s_delay_alu instid0(VALU_DEP_1) | instskip(NEXT) | instid1(VALU_DEP_1)
	v_mad_u64_u32 v[12:13], null, 0x4e441529, v15, v[6:7]
	v_mov_b32_e32 v6, v13
	s_delay_alu instid0(VALU_DEP_1) | instskip(SKIP_1) | instid1(VALU_DEP_1)
	v_mad_u64_u32 v[13:14], null, 0xa2f9836e, v15, v[6:7]
	v_cndmask_b32_e64 v6, 0, 0xffffffe0, s1
	v_dual_cndmask_b32 v7, v12, v10 :: v_dual_add_nc_u32 v6, v6, v16
	s_delay_alu instid0(VALU_DEP_3) | instskip(NEXT) | instid1(VALU_DEP_4)
	v_cndmask_b32_e32 v13, v13, v11, vcc_lo
	v_dual_cndmask_b32 v11, v11, v9 :: v_dual_cndmask_b32 v12, v14, v12
	s_delay_alu instid0(VALU_DEP_3) | instskip(NEXT) | instid1(VALU_DEP_3)
	v_cmp_eq_u32_e64 s2, 0, v6
	v_cndmask_b32_e64 v10, v13, v7, s0
	s_delay_alu instid0(VALU_DEP_3) | instskip(NEXT) | instid1(VALU_DEP_4)
	v_cndmask_b32_e64 v7, v7, v11, s0
	v_cndmask_b32_e64 v12, v12, v13, s0
	v_sub_nc_u32_e32 v13, 32, v6
	v_cndmask_b32_e64 v11, v11, v8, s0
	s_delay_alu instid0(VALU_DEP_3) | instskip(SKIP_1) | instid1(VALU_DEP_3)
	v_cndmask_b32_e64 v12, v12, v10, s1
	v_cndmask_b32_e64 v10, v10, v7, s1
	;; [unrolled: 1-line block ×4, first 2 shown]
	s_delay_alu instid0(VALU_DEP_3) | instskip(NEXT) | instid1(VALU_DEP_3)
	v_alignbit_b32 v14, v12, v10, v13
	v_alignbit_b32 v15, v10, v7, v13
	s_delay_alu instid0(VALU_DEP_3) | instskip(NEXT) | instid1(VALU_DEP_3)
	v_alignbit_b32 v13, v7, v5, v13
	v_cndmask_b32_e64 v6, v14, v12, s2
	s_delay_alu instid0(VALU_DEP_3) | instskip(NEXT) | instid1(VALU_DEP_3)
	v_cndmask_b32_e64 v9, v15, v10, s2
	v_cndmask_b32_e64 v7, v13, v7, s2
	s_delay_alu instid0(VALU_DEP_3) | instskip(NEXT) | instid1(VALU_DEP_3)
	v_bfe_u32 v10, v6, 29, 1
	v_alignbit_b32 v8, v6, v9, 30
	s_delay_alu instid0(VALU_DEP_3) | instskip(SKIP_1) | instid1(VALU_DEP_4)
	v_alignbit_b32 v9, v9, v7, 30
	v_alignbit_b32 v5, v7, v5, 30
	v_sub_nc_u32_e32 v12, 0, v10
	s_delay_alu instid0(VALU_DEP_1) | instskip(SKIP_3) | instid1(VALU_DEP_4)
	v_xor_b32_e32 v11, v8, v12
	v_cmp_ne_u32_e32 vcc_lo, v8, v12
	v_xor_b32_e32 v7, v9, v12
	v_xor_b32_e32 v5, v5, v12
	v_clz_i32_u32_e32 v14, v11
	s_delay_alu instid0(VALU_DEP_1) | instskip(NEXT) | instid1(VALU_DEP_1)
	v_add_nc_u32_e32 v13, 1, v14
	v_cndmask_b32_e32 v8, 33, v13, vcc_lo
	s_delay_alu instid0(VALU_DEP_1) | instskip(NEXT) | instid1(VALU_DEP_1)
	v_sub_nc_u32_e32 v9, 32, v8
	v_alignbit_b32 v11, v11, v7, v9
	v_alignbit_b32 v5, v7, v5, v9
	v_lshrrev_b32_e32 v7, 29, v6
	v_lshrrev_b32_e32 v6, 30, v6
	s_delay_alu instid0(VALU_DEP_3) | instskip(NEXT) | instid1(VALU_DEP_3)
	v_alignbit_b32 v9, v11, v5, 9
	v_lshlrev_b32_e32 v7, 31, v7
	v_alignbit_b32 v11, v8, v11, 9
	s_delay_alu instid0(VALU_DEP_4) | instskip(NEXT) | instid1(VALU_DEP_4)
	v_add_nc_u32_e32 v6, v10, v6
	v_clz_i32_u32_e32 v12, v9
	s_delay_alu instid0(VALU_DEP_3) | instskip(SKIP_1) | instid1(VALU_DEP_3)
	v_or_b32_e32 v11, v11, v7
	v_or_b32_e32 v7, 0x33800000, v7
	v_min_u32_e32 v12, 32, v12
	s_delay_alu instid0(VALU_DEP_3) | instskip(NEXT) | instid1(VALU_DEP_2)
	v_xor_b32_e32 v11, 1.0, v11
	v_sub_nc_u32_e32 v13, 31, v12
	v_add_lshl_u32 v8, v12, v8, 23
	s_delay_alu instid0(VALU_DEP_3) | instskip(NEXT) | instid1(VALU_DEP_3)
	v_mul_f32_e32 v12, 0x3fc90fda, v11
	v_alignbit_b32 v5, v9, v5, v13
	s_delay_alu instid0(VALU_DEP_3) | instskip(NEXT) | instid1(VALU_DEP_3)
	v_sub_nc_u32_e32 v7, v7, v8
	v_fma_f32 v8, 0x3fc90fda, v11, -v12
	s_delay_alu instid0(VALU_DEP_3) | instskip(NEXT) | instid1(VALU_DEP_2)
	v_lshrrev_b32_e32 v5, 9, v5
	v_fmamk_f32 v8, v11, 0x33a22168, v8
	s_delay_alu instid0(VALU_DEP_2) | instskip(NEXT) | instid1(VALU_DEP_1)
	v_or_b32_e32 v5, v7, v5
	v_fmac_f32_e32 v8, 0x3fc90fda, v5
	s_delay_alu instid0(VALU_DEP_1)
	v_add_f32_e32 v5, v12, v8
.LBB43_3:
	s_and_not1_saveexec_b32 s0, s3
; %bb.4:
	v_mul_f32_e32 v5, 0x3f22f983, v2
	s_delay_alu instid0(VALU_DEP_1) | instskip(NEXT) | instid1(VALU_DEP_1)
	v_rndne_f32_e32 v6, v5
	v_fmamk_f32 v5, v6, 0xbfc90fda, v2
	s_delay_alu instid0(VALU_DEP_1) | instskip(NEXT) | instid1(VALU_DEP_1)
	v_fmamk_f32 v5, v6, 0xb3a22168, v5
	v_fmamk_f32 v5, v6, 0xa7c234c4, v5
	v_cvt_i32_f32_e32 v6, v6
; %bb.5:
	s_or_b32 exec_lo, exec_lo, s0
	v_add3_u32 v3, v4, v3, 0x587c5
	s_delay_alu instid0(VALU_DEP_2) | instskip(SKIP_4) | instid1(VALU_DEP_2)
	v_and_b32_e32 v13, 1, v6
	s_mov_b32 s1, 0x37d75334
	s_mov_b32 s0, 0xb94c1982
	v_lshlrev_b32_e32 v6, 30, v6
	v_cvt_f32_u32_e32 v3, v3
	v_and_b32_e32 v6, 0x80000000, v6
	s_delay_alu instid0(VALU_DEP_2) | instskip(NEXT) | instid1(VALU_DEP_1)
	v_mul_f32_e32 v3, 0x2f800000, v3
	v_cmp_ngt_f32_e32 vcc_lo, 0x2edbe6ff, v3
	v_cndmask_b32_e32 v3, 0x2edbe6ff, v3, vcc_lo
	s_delay_alu instid0(VALU_DEP_1) | instskip(SKIP_1) | instid1(VALU_DEP_1)
	v_cmp_gt_f32_e32 vcc_lo, 0x800000, v3
	v_cndmask_b32_e64 v4, 1.0, 0x4f800000, vcc_lo
	v_mul_f32_e32 v3, v3, v4
	s_delay_alu instid0(VALU_DEP_1) | instskip(SKIP_2) | instid1(VALU_DEP_1)
	v_log_f32_e32 v3, v3
	s_waitcnt_depctr 0xfff
	v_mul_f32_e32 v4, 0x3f317217, v3
	v_fma_f32 v7, 0x3f317217, v3, -v4
	s_delay_alu instid0(VALU_DEP_1) | instskip(NEXT) | instid1(VALU_DEP_1)
	v_fmamk_f32 v7, v3, 0x3377d1cf, v7
	v_add_f32_e32 v4, v4, v7
	v_cndmask_b32_e64 v7, 0, 0x41b17218, vcc_lo
	v_cmp_gt_f32_e64 vcc_lo, 0x7f800000, |v3|
	s_delay_alu instid0(VALU_DEP_3) | instskip(NEXT) | instid1(VALU_DEP_1)
	v_cndmask_b32_e32 v3, v3, v4, vcc_lo
	v_sub_f32_e32 v3, v3, v7
	v_mul_f32_e32 v7, v5, v5
	s_delay_alu instid0(VALU_DEP_1) | instskip(NEXT) | instid1(VALU_DEP_3)
	v_fmaak_f32 v10, s1, v7, 0xbab64f3b
	v_mul_f32_e32 v3, -2.0, v3
	v_fmaak_f32 v9, s0, v7, 0x3c0881c4
	s_delay_alu instid0(VALU_DEP_3) | instskip(NEXT) | instid1(VALU_DEP_3)
	v_fmaak_f32 v10, v7, v10, 0x3d2aabf7
	v_mul_f32_e32 v4, 0x4f800000, v3
	v_cmp_gt_f32_e32 vcc_lo, 0xf800000, v3
	s_delay_alu instid0(VALU_DEP_4) | instskip(NEXT) | instid1(VALU_DEP_3)
	v_fmaak_f32 v9, v7, v9, 0xbe2aaa9d
	v_cndmask_b32_e32 v3, v3, v4, vcc_lo
	s_delay_alu instid0(VALU_DEP_1) | instskip(SKIP_3) | instid1(VALU_DEP_2)
	v_sqrt_f32_e32 v4, v3
	s_waitcnt_depctr 0xfff
	v_add_nc_u32_e32 v8, -1, v4
	v_add_nc_u32_e32 v11, 1, v4
	v_fma_f32 v12, -v8, v4, v3
	s_delay_alu instid0(VALU_DEP_2) | instskip(NEXT) | instid1(VALU_DEP_2)
	v_fma_f32 v14, -v11, v4, v3
	v_cmp_ge_f32_e64 s0, 0, v12
	s_delay_alu instid0(VALU_DEP_1) | instskip(NEXT) | instid1(VALU_DEP_3)
	v_cndmask_b32_e64 v4, v4, v8, s0
	v_cmp_lt_f32_e64 s0, 0, v14
	v_mul_f32_e32 v8, v7, v9
	v_fmaak_f32 v9, v7, v10, 0xbf000004
	s_delay_alu instid0(VALU_DEP_3) | instskip(NEXT) | instid1(VALU_DEP_3)
	v_cndmask_b32_e64 v4, v4, v11, s0
	v_fmac_f32_e32 v5, v5, v8
	s_delay_alu instid0(VALU_DEP_3) | instskip(NEXT) | instid1(VALU_DEP_3)
	v_fma_f32 v7, v7, v9, 1.0
	v_mul_f32_e32 v8, 0x37800000, v4
	s_delay_alu instid0(VALU_DEP_1) | instskip(SKIP_2) | instid1(VALU_DEP_2)
	v_cndmask_b32_e32 v4, v4, v8, vcc_lo
	v_cmp_eq_u32_e64 s0, 0, v13
	v_cmp_class_f32_e64 vcc_lo, v3, 0x260
	v_cndmask_b32_e64 v5, -v5, v7, s0
	s_delay_alu instid0(VALU_DEP_4) | instskip(SKIP_1) | instid1(VALU_DEP_3)
	v_cndmask_b32_e32 v3, v4, v3, vcc_lo
	v_cmp_lg_f32_e32 vcc_lo, 0x7f800000, v2
	v_xor_b32_e32 v5, v6, v5
	s_delay_alu instid0(VALU_DEP_1) | instskip(NEXT) | instid1(VALU_DEP_1)
	v_cndmask_b32_e32 v2, 0x7fc00000, v5, vcc_lo
	v_mul_f32_e32 v3, v3, v2
	s_delay_alu instid0(VALU_DEP_1) | instskip(NEXT) | instid1(VALU_DEP_1)
	v_and_b32_e32 v2, 0x7f800000, v3
	v_cmp_ne_u32_e32 vcc_lo, 0x7f800000, v2
                                        ; implicit-def: $vgpr2
	s_and_saveexec_b32 s0, vcc_lo
	s_delay_alu instid0(SALU_CYCLE_1)
	s_xor_b32 s0, exec_lo, s0
; %bb.6:
	v_bfe_u32 v2, v3, 16, 1
	s_delay_alu instid0(VALU_DEP_1)
	v_add3_u32 v2, v3, v2, 0x7fff
                                        ; implicit-def: $vgpr3
; %bb.7:
	s_and_not1_saveexec_b32 s0, s0
; %bb.8:
	v_and_b32_e32 v2, 0xffff, v3
	v_or_b32_e32 v4, 0x10000, v3
	s_delay_alu instid0(VALU_DEP_2) | instskip(NEXT) | instid1(VALU_DEP_2)
	v_cmp_eq_u32_e32 vcc_lo, 0, v2
	v_cndmask_b32_e32 v2, v4, v3, vcc_lo
; %bb.9:
	s_or_b32 exec_lo, exec_lo, s0
	v_lshlrev_b64 v[0:1], 1, v[0:1]
	s_delay_alu instid0(VALU_DEP_1) | instskip(NEXT) | instid1(VALU_DEP_2)
	v_add_co_u32 v0, vcc_lo, s4, v0
	v_add_co_ci_u32_e32 v1, vcc_lo, s5, v1, vcc_lo
	global_store_d16_hi_b16 v[0:1], v2, off
.LBB43_10:
	s_nop 0
	s_sendmsg sendmsg(MSG_DEALLOC_VGPRS)
	s_endpgm
	.section	.rodata,"a",@progbits
	.p2align	6, 0x0
	.amdhsa_kernel _Z11fill_kernelI12hip_bfloat16Z21hipblaslt_init_deviceIS0_Ev8ABC_dims24hipblaslt_initializationbPT_mmmmmEUlmE9_EvS5_mmT0_
		.amdhsa_group_segment_fixed_size 0
		.amdhsa_private_segment_fixed_size 0
		.amdhsa_kernarg_size 288
		.amdhsa_user_sgpr_count 15
		.amdhsa_user_sgpr_dispatch_ptr 0
		.amdhsa_user_sgpr_queue_ptr 0
		.amdhsa_user_sgpr_kernarg_segment_ptr 1
		.amdhsa_user_sgpr_dispatch_id 0
		.amdhsa_user_sgpr_private_segment_size 0
		.amdhsa_wavefront_size32 1
		.amdhsa_uses_dynamic_stack 0
		.amdhsa_enable_private_segment 0
		.amdhsa_system_sgpr_workgroup_id_x 1
		.amdhsa_system_sgpr_workgroup_id_y 0
		.amdhsa_system_sgpr_workgroup_id_z 0
		.amdhsa_system_sgpr_workgroup_info 0
		.amdhsa_system_vgpr_workitem_id 0
		.amdhsa_next_free_vgpr 17
		.amdhsa_next_free_sgpr 16
		.amdhsa_reserve_vcc 1
		.amdhsa_float_round_mode_32 0
		.amdhsa_float_round_mode_16_64 0
		.amdhsa_float_denorm_mode_32 3
		.amdhsa_float_denorm_mode_16_64 3
		.amdhsa_dx10_clamp 1
		.amdhsa_ieee_mode 1
		.amdhsa_fp16_overflow 0
		.amdhsa_workgroup_processor_mode 1
		.amdhsa_memory_ordered 1
		.amdhsa_forward_progress 0
		.amdhsa_shared_vgpr_count 0
		.amdhsa_exception_fp_ieee_invalid_op 0
		.amdhsa_exception_fp_denorm_src 0
		.amdhsa_exception_fp_ieee_div_zero 0
		.amdhsa_exception_fp_ieee_overflow 0
		.amdhsa_exception_fp_ieee_underflow 0
		.amdhsa_exception_fp_ieee_inexact 0
		.amdhsa_exception_int_div_zero 0
	.end_amdhsa_kernel
	.section	.text._Z11fill_kernelI12hip_bfloat16Z21hipblaslt_init_deviceIS0_Ev8ABC_dims24hipblaslt_initializationbPT_mmmmmEUlmE9_EvS5_mmT0_,"axG",@progbits,_Z11fill_kernelI12hip_bfloat16Z21hipblaslt_init_deviceIS0_Ev8ABC_dims24hipblaslt_initializationbPT_mmmmmEUlmE9_EvS5_mmT0_,comdat
.Lfunc_end43:
	.size	_Z11fill_kernelI12hip_bfloat16Z21hipblaslt_init_deviceIS0_Ev8ABC_dims24hipblaslt_initializationbPT_mmmmmEUlmE9_EvS5_mmT0_, .Lfunc_end43-_Z11fill_kernelI12hip_bfloat16Z21hipblaslt_init_deviceIS0_Ev8ABC_dims24hipblaslt_initializationbPT_mmmmmEUlmE9_EvS5_mmT0_
                                        ; -- End function
	.section	.AMDGPU.csdata,"",@progbits
; Kernel info:
; codeLenInByte = 1668
; NumSgprs: 18
; NumVgprs: 17
; ScratchSize: 0
; MemoryBound: 0
; FloatMode: 240
; IeeeMode: 1
; LDSByteSize: 0 bytes/workgroup (compile time only)
; SGPRBlocks: 2
; VGPRBlocks: 2
; NumSGPRsForWavesPerEU: 18
; NumVGPRsForWavesPerEU: 17
; Occupancy: 16
; WaveLimiterHint : 0
; COMPUTE_PGM_RSRC2:SCRATCH_EN: 0
; COMPUTE_PGM_RSRC2:USER_SGPR: 15
; COMPUTE_PGM_RSRC2:TRAP_HANDLER: 0
; COMPUTE_PGM_RSRC2:TGID_X_EN: 1
; COMPUTE_PGM_RSRC2:TGID_Y_EN: 0
; COMPUTE_PGM_RSRC2:TGID_Z_EN: 0
; COMPUTE_PGM_RSRC2:TIDIG_COMP_CNT: 0
	.section	.text._Z11fill_kernelI17hipblaslt_f8_fnuzZ21hipblaslt_init_deviceIS0_Ev8ABC_dims24hipblaslt_initializationbPT_mmmmmEUlmE_EvS5_mmT0_,"axG",@progbits,_Z11fill_kernelI17hipblaslt_f8_fnuzZ21hipblaslt_init_deviceIS0_Ev8ABC_dims24hipblaslt_initializationbPT_mmmmmEUlmE_EvS5_mmT0_,comdat
	.protected	_Z11fill_kernelI17hipblaslt_f8_fnuzZ21hipblaslt_init_deviceIS0_Ev8ABC_dims24hipblaslt_initializationbPT_mmmmmEUlmE_EvS5_mmT0_ ; -- Begin function _Z11fill_kernelI17hipblaslt_f8_fnuzZ21hipblaslt_init_deviceIS0_Ev8ABC_dims24hipblaslt_initializationbPT_mmmmmEUlmE_EvS5_mmT0_
	.globl	_Z11fill_kernelI17hipblaslt_f8_fnuzZ21hipblaslt_init_deviceIS0_Ev8ABC_dims24hipblaslt_initializationbPT_mmmmmEUlmE_EvS5_mmT0_
	.p2align	8
	.type	_Z11fill_kernelI17hipblaslt_f8_fnuzZ21hipblaslt_init_deviceIS0_Ev8ABC_dims24hipblaslt_initializationbPT_mmmmmEUlmE_EvS5_mmT0_,@function
_Z11fill_kernelI17hipblaslt_f8_fnuzZ21hipblaslt_init_deviceIS0_Ev8ABC_dims24hipblaslt_initializationbPT_mmmmmEUlmE_EvS5_mmT0_: ; @_Z11fill_kernelI17hipblaslt_f8_fnuzZ21hipblaslt_init_deviceIS0_Ev8ABC_dims24hipblaslt_initializationbPT_mmmmmEUlmE_EvS5_mmT0_
; %bb.0:
	s_clause 0x1
	s_load_b32 s2, s[0:1], 0x8c
	s_load_b128 s[4:7], s[0:1], 0x0
	s_waitcnt lgkmcnt(0)
	s_and_b32 s2, s2, 0xffff
	s_delay_alu instid0(SALU_CYCLE_1) | instskip(SKIP_2) | instid1(VALU_DEP_1)
	v_mad_u64_u32 v[1:2], null, s15, s2, v[0:1]
	v_mov_b32_e32 v2, 0
	s_mov_b32 s2, exec_lo
	v_cmpx_gt_u64_e64 s[6:7], v[1:2]
	s_cbranch_execz .LBB44_2
; %bb.1:
	s_load_b64 s[2:3], s[0:1], 0x10
	s_mov_b32 s6, 0x19660d
	s_waitcnt lgkmcnt(0)
	v_add_co_u32 v4, s2, v1, s2
	s_delay_alu instid0(VALU_DEP_1) | instskip(NEXT) | instid1(VALU_DEP_2)
	v_add_co_ci_u32_e64 v5, null, 0, s3, s2
	v_mad_u64_u32 v[0:1], null, v4, s6, 0x3c6ef35f
	s_delay_alu instid0(VALU_DEP_1) | instskip(NEXT) | instid1(VALU_DEP_1)
	v_mad_u64_u32 v[2:3], null, 0x19660d, v5, v[1:2]
	v_mov_b32_e32 v1, v2
	s_delay_alu instid0(VALU_DEP_1) | instskip(NEXT) | instid1(VALU_DEP_1)
	v_lshlrev_b64 v[2:3], 13, v[0:1]
	v_xor_b32_e32 v1, v3, v1
	s_delay_alu instid0(VALU_DEP_2) | instskip(NEXT) | instid1(VALU_DEP_1)
	v_xor_b32_e32 v0, v2, v0
	v_lshrrev_b64 v[2:3], 17, v[0:1]
	s_delay_alu instid0(VALU_DEP_1) | instskip(NEXT) | instid1(VALU_DEP_2)
	v_xor_b32_e32 v1, v3, v1
	v_xor_b32_e32 v0, v2, v0
	s_delay_alu instid0(VALU_DEP_1) | instskip(NEXT) | instid1(VALU_DEP_1)
	v_lshlrev_b64 v[2:3], 5, v[0:1]
	v_xor_b32_e32 v1, v3, v1
	s_delay_alu instid0(VALU_DEP_2) | instskip(NEXT) | instid1(VALU_DEP_1)
	v_xor_b32_e32 v0, v2, v0
	v_lshlrev_b64 v[2:3], 13, v[0:1]
	s_delay_alu instid0(VALU_DEP_1) | instskip(NEXT) | instid1(VALU_DEP_2)
	v_xor_b32_e32 v1, v3, v1
	v_xor_b32_e32 v0, v2, v0
	s_delay_alu instid0(VALU_DEP_1) | instskip(NEXT) | instid1(VALU_DEP_1)
	v_lshrrev_b64 v[2:3], 17, v[0:1]
	v_xor_b32_e32 v1, v3, v1
	s_delay_alu instid0(VALU_DEP_2) | instskip(NEXT) | instid1(VALU_DEP_1)
	v_xor_b32_e32 v0, v2, v0
	v_lshlrev_b64 v[2:3], 5, v[0:1]
	s_delay_alu instid0(VALU_DEP_1) | instskip(NEXT) | instid1(VALU_DEP_2)
	v_xor_b32_e32 v1, v3, v1
	v_xor_b32_e32 v0, v2, v0
	s_delay_alu instid0(VALU_DEP_1) | instskip(NEXT) | instid1(VALU_DEP_1)
	v_lshlrev_b64 v[2:3], 13, v[0:1]
	v_xor_b32_e32 v1, v3, v1
	s_delay_alu instid0(VALU_DEP_2) | instskip(NEXT) | instid1(VALU_DEP_1)
	v_xor_b32_e32 v0, v2, v0
	v_alignbit_b32 v1, v1, v0, 17
	s_delay_alu instid0(VALU_DEP_1) | instskip(NEXT) | instid1(VALU_DEP_1)
	v_xor_b32_e32 v0, v1, v0
	v_lshlrev_b32_e32 v1, 5, v0
	s_delay_alu instid0(VALU_DEP_1) | instskip(NEXT) | instid1(VALU_DEP_1)
	v_xor_b32_e32 v0, v1, v0
	v_mul_hi_u32 v1, 0x51eb851f, v0
	s_delay_alu instid0(VALU_DEP_1) | instskip(NEXT) | instid1(VALU_DEP_1)
	v_lshrrev_b32_e32 v1, 5, v1
	v_mul_lo_u32 v1, 0x64, v1
	s_delay_alu instid0(VALU_DEP_1)
	v_sub_nc_u32_e32 v0, v0, v1
	global_load_u8 v2, v0, s[0:1] offset:24
	v_add_co_u32 v0, vcc_lo, s4, v4
	v_add_co_ci_u32_e32 v1, vcc_lo, s5, v5, vcc_lo
	s_waitcnt vmcnt(0)
	global_store_b8 v[0:1], v2, off
.LBB44_2:
	s_nop 0
	s_sendmsg sendmsg(MSG_DEALLOC_VGPRS)
	s_endpgm
	.section	.rodata,"a",@progbits
	.p2align	6, 0x0
	.amdhsa_kernel _Z11fill_kernelI17hipblaslt_f8_fnuzZ21hipblaslt_init_deviceIS0_Ev8ABC_dims24hipblaslt_initializationbPT_mmmmmEUlmE_EvS5_mmT0_
		.amdhsa_group_segment_fixed_size 0
		.amdhsa_private_segment_fixed_size 0
		.amdhsa_kernarg_size 384
		.amdhsa_user_sgpr_count 15
		.amdhsa_user_sgpr_dispatch_ptr 0
		.amdhsa_user_sgpr_queue_ptr 0
		.amdhsa_user_sgpr_kernarg_segment_ptr 1
		.amdhsa_user_sgpr_dispatch_id 0
		.amdhsa_user_sgpr_private_segment_size 0
		.amdhsa_wavefront_size32 1
		.amdhsa_uses_dynamic_stack 0
		.amdhsa_enable_private_segment 0
		.amdhsa_system_sgpr_workgroup_id_x 1
		.amdhsa_system_sgpr_workgroup_id_y 0
		.amdhsa_system_sgpr_workgroup_id_z 0
		.amdhsa_system_sgpr_workgroup_info 0
		.amdhsa_system_vgpr_workitem_id 0
		.amdhsa_next_free_vgpr 6
		.amdhsa_next_free_sgpr 16
		.amdhsa_reserve_vcc 1
		.amdhsa_float_round_mode_32 0
		.amdhsa_float_round_mode_16_64 0
		.amdhsa_float_denorm_mode_32 3
		.amdhsa_float_denorm_mode_16_64 3
		.amdhsa_dx10_clamp 1
		.amdhsa_ieee_mode 1
		.amdhsa_fp16_overflow 0
		.amdhsa_workgroup_processor_mode 1
		.amdhsa_memory_ordered 1
		.amdhsa_forward_progress 0
		.amdhsa_shared_vgpr_count 0
		.amdhsa_exception_fp_ieee_invalid_op 0
		.amdhsa_exception_fp_denorm_src 0
		.amdhsa_exception_fp_ieee_div_zero 0
		.amdhsa_exception_fp_ieee_overflow 0
		.amdhsa_exception_fp_ieee_underflow 0
		.amdhsa_exception_fp_ieee_inexact 0
		.amdhsa_exception_int_div_zero 0
	.end_amdhsa_kernel
	.section	.text._Z11fill_kernelI17hipblaslt_f8_fnuzZ21hipblaslt_init_deviceIS0_Ev8ABC_dims24hipblaslt_initializationbPT_mmmmmEUlmE_EvS5_mmT0_,"axG",@progbits,_Z11fill_kernelI17hipblaslt_f8_fnuzZ21hipblaslt_init_deviceIS0_Ev8ABC_dims24hipblaslt_initializationbPT_mmmmmEUlmE_EvS5_mmT0_,comdat
.Lfunc_end44:
	.size	_Z11fill_kernelI17hipblaslt_f8_fnuzZ21hipblaslt_init_deviceIS0_Ev8ABC_dims24hipblaslt_initializationbPT_mmmmmEUlmE_EvS5_mmT0_, .Lfunc_end44-_Z11fill_kernelI17hipblaslt_f8_fnuzZ21hipblaslt_init_deviceIS0_Ev8ABC_dims24hipblaslt_initializationbPT_mmmmmEUlmE_EvS5_mmT0_
                                        ; -- End function
	.section	.AMDGPU.csdata,"",@progbits
; Kernel info:
; codeLenInByte = 404
; NumSgprs: 18
; NumVgprs: 6
; ScratchSize: 0
; MemoryBound: 0
; FloatMode: 240
; IeeeMode: 1
; LDSByteSize: 0 bytes/workgroup (compile time only)
; SGPRBlocks: 2
; VGPRBlocks: 0
; NumSGPRsForWavesPerEU: 18
; NumVGPRsForWavesPerEU: 6
; Occupancy: 16
; WaveLimiterHint : 0
; COMPUTE_PGM_RSRC2:SCRATCH_EN: 0
; COMPUTE_PGM_RSRC2:USER_SGPR: 15
; COMPUTE_PGM_RSRC2:TRAP_HANDLER: 0
; COMPUTE_PGM_RSRC2:TGID_X_EN: 1
; COMPUTE_PGM_RSRC2:TGID_Y_EN: 0
; COMPUTE_PGM_RSRC2:TGID_Z_EN: 0
; COMPUTE_PGM_RSRC2:TIDIG_COMP_CNT: 0
	.section	.text._Z11fill_kernelI17hipblaslt_f8_fnuzZ21hipblaslt_init_deviceIS0_Ev8ABC_dims24hipblaslt_initializationbPT_mmmmmEUlmE0_EvS5_mmT0_,"axG",@progbits,_Z11fill_kernelI17hipblaslt_f8_fnuzZ21hipblaslt_init_deviceIS0_Ev8ABC_dims24hipblaslt_initializationbPT_mmmmmEUlmE0_EvS5_mmT0_,comdat
	.protected	_Z11fill_kernelI17hipblaslt_f8_fnuzZ21hipblaslt_init_deviceIS0_Ev8ABC_dims24hipblaslt_initializationbPT_mmmmmEUlmE0_EvS5_mmT0_ ; -- Begin function _Z11fill_kernelI17hipblaslt_f8_fnuzZ21hipblaslt_init_deviceIS0_Ev8ABC_dims24hipblaslt_initializationbPT_mmmmmEUlmE0_EvS5_mmT0_
	.globl	_Z11fill_kernelI17hipblaslt_f8_fnuzZ21hipblaslt_init_deviceIS0_Ev8ABC_dims24hipblaslt_initializationbPT_mmmmmEUlmE0_EvS5_mmT0_
	.p2align	8
	.type	_Z11fill_kernelI17hipblaslt_f8_fnuzZ21hipblaslt_init_deviceIS0_Ev8ABC_dims24hipblaslt_initializationbPT_mmmmmEUlmE0_EvS5_mmT0_,@function
_Z11fill_kernelI17hipblaslt_f8_fnuzZ21hipblaslt_init_deviceIS0_Ev8ABC_dims24hipblaslt_initializationbPT_mmmmmEUlmE0_EvS5_mmT0_: ; @_Z11fill_kernelI17hipblaslt_f8_fnuzZ21hipblaslt_init_deviceIS0_Ev8ABC_dims24hipblaslt_initializationbPT_mmmmmEUlmE0_EvS5_mmT0_
; %bb.0:
	s_clause 0x1
	s_load_b32 s2, s[0:1], 0x2c
	s_load_b128 s[4:7], s[0:1], 0x0
	s_waitcnt lgkmcnt(0)
	s_and_b32 s2, s2, 0xffff
	s_delay_alu instid0(SALU_CYCLE_1) | instskip(SKIP_2) | instid1(VALU_DEP_1)
	v_mad_u64_u32 v[1:2], null, s15, s2, v[0:1]
	v_mov_b32_e32 v2, 0
	s_mov_b32 s2, exec_lo
	v_cmpx_gt_u64_e64 s[6:7], v[1:2]
	s_cbranch_execz .LBB45_8
; %bb.1:
	s_load_b64 s[0:1], s[0:1], 0x10
	s_mov_b32 s2, 0x19660d
	s_waitcnt lgkmcnt(0)
	v_add_co_u32 v4, s0, v1, s0
	s_delay_alu instid0(VALU_DEP_1) | instskip(NEXT) | instid1(VALU_DEP_2)
	v_add_co_ci_u32_e64 v5, null, 0, s1, s0
	v_mad_u64_u32 v[0:1], null, v4, s2, 0x3c6ef35f
	s_delay_alu instid0(VALU_DEP_1) | instskip(NEXT) | instid1(VALU_DEP_1)
	v_mad_u64_u32 v[6:7], null, 0x19660d, v5, v[1:2]
	v_mov_b32_e32 v1, v6
	s_delay_alu instid0(VALU_DEP_1) | instskip(NEXT) | instid1(VALU_DEP_1)
	v_lshlrev_b64 v[6:7], 13, v[0:1]
	v_xor_b32_e32 v1, v7, v1
	s_delay_alu instid0(VALU_DEP_2) | instskip(NEXT) | instid1(VALU_DEP_1)
	v_xor_b32_e32 v0, v6, v0
	v_lshrrev_b64 v[6:7], 17, v[0:1]
	s_delay_alu instid0(VALU_DEP_1) | instskip(NEXT) | instid1(VALU_DEP_2)
	v_xor_b32_e32 v1, v7, v1
	v_xor_b32_e32 v0, v6, v0
	s_delay_alu instid0(VALU_DEP_1) | instskip(NEXT) | instid1(VALU_DEP_1)
	v_lshlrev_b64 v[6:7], 5, v[0:1]
	v_xor_b32_e32 v1, v7, v1
	s_delay_alu instid0(VALU_DEP_2) | instskip(NEXT) | instid1(VALU_DEP_1)
	v_xor_b32_e32 v0, v6, v0
	v_lshlrev_b64 v[6:7], 13, v[0:1]
	s_delay_alu instid0(VALU_DEP_1) | instskip(NEXT) | instid1(VALU_DEP_2)
	v_xor_b32_e32 v1, v7, v1
	v_xor_b32_e32 v0, v6, v0
	s_delay_alu instid0(VALU_DEP_1) | instskip(NEXT) | instid1(VALU_DEP_1)
	v_lshrrev_b64 v[6:7], 17, v[0:1]
	v_xor_b32_e32 v1, v7, v1
	s_delay_alu instid0(VALU_DEP_2) | instskip(NEXT) | instid1(VALU_DEP_1)
	v_xor_b32_e32 v0, v6, v0
	v_lshlrev_b64 v[6:7], 5, v[0:1]
	s_delay_alu instid0(VALU_DEP_1) | instskip(NEXT) | instid1(VALU_DEP_2)
	v_xor_b32_e32 v1, v7, v1
	v_xor_b32_e32 v0, v6, v0
	s_delay_alu instid0(VALU_DEP_1) | instskip(NEXT) | instid1(VALU_DEP_1)
	v_lshlrev_b64 v[6:7], 13, v[0:1]
	v_xor_b32_e32 v1, v7, v1
	s_delay_alu instid0(VALU_DEP_2) | instskip(NEXT) | instid1(VALU_DEP_1)
	v_xor_b32_e32 v0, v6, v0
	v_alignbit_b32 v1, v1, v0, 17
	s_delay_alu instid0(VALU_DEP_1) | instskip(NEXT) | instid1(VALU_DEP_1)
	v_xor_b32_e32 v0, v1, v0
	v_lshlrev_b32_e32 v1, 5, v0
	s_delay_alu instid0(VALU_DEP_1) | instskip(NEXT) | instid1(VALU_DEP_1)
	v_xor_b32_e32 v0, v1, v0
	v_mul_hi_u32 v1, 0xcccccccd, v0
	s_delay_alu instid0(VALU_DEP_1) | instskip(NEXT) | instid1(VALU_DEP_1)
	v_lshrrev_b32_e32 v1, 3, v1
	v_mul_lo_u32 v1, v1, 10
	s_delay_alu instid0(VALU_DEP_1) | instskip(NEXT) | instid1(VALU_DEP_1)
	v_sub_nc_u32_e32 v0, v0, v1
	v_add_nc_u32_e32 v0, 1, v0
	s_delay_alu instid0(VALU_DEP_1) | instskip(NEXT) | instid1(VALU_DEP_1)
	v_cvt_f32_u32_e32 v0, v0
	v_and_b32_e32 v1, 0x7f800000, v0
	v_cmp_gt_u32_e64 s0, 0x43700001, v0
	s_delay_alu instid0(VALU_DEP_2) | instskip(SKIP_1) | instid1(VALU_DEP_3)
	v_cmp_ne_u64_e32 vcc_lo, 0x7f800000, v[1:2]
	v_mov_b32_e32 v1, 0x7f
	s_and_b32 s0, s0, vcc_lo
	s_delay_alu instid0(SALU_CYCLE_1)
	s_and_saveexec_b32 s2, s0
	s_cbranch_execz .LBB45_7
; %bb.2:
	v_lshrrev_b32_e32 v10, 23, v0
	v_cmp_gt_u32_e32 vcc_lo, 0x800000, v0
	v_and_b32_e32 v2, 0x7fffff, v0
	s_delay_alu instid0(VALU_DEP_3) | instskip(SKIP_1) | instid1(VALU_DEP_2)
	v_sub_nc_u32_e64 v1, 0x78, v10 clamp
	v_add_nc_u32_e32 v10, 0xffffff89, v10
	v_cndmask_b32_e64 v11, v1, 0x77, vcc_lo
	v_mov_b32_e32 v1, 0
	v_or_b32_e32 v0, 0x800000, v2
	s_delay_alu instid0(VALU_DEP_3) | instskip(SKIP_1) | instid1(VALU_DEP_3)
	v_add_nc_u32_e32 v3, 20, v11
	v_add_nc_u32_e32 v6, 19, v11
	v_cndmask_b32_e32 v0, v0, v2, vcc_lo
	s_delay_alu instid0(VALU_DEP_3) | instskip(SKIP_1) | instid1(VALU_DEP_3)
	v_lshlrev_b64 v[2:3], v3, -1
	v_mov_b32_e32 v3, v1
	v_lshrrev_b64 v[8:9], v11, v[0:1]
	v_lshlrev_b64 v[6:7], v6, 1
	s_delay_alu instid0(VALU_DEP_4) | instskip(NEXT) | instid1(VALU_DEP_1)
	v_not_b32_e32 v2, v2
	v_and_b32_e32 v2, v0, v2
	s_delay_alu instid0(VALU_DEP_4) | instskip(NEXT) | instid1(VALU_DEP_2)
	v_and_b32_e32 v0, 0x100000, v8
	v_cmp_eq_u64_e64 s0, v[2:3], v[6:7]
	s_delay_alu instid0(VALU_DEP_2) | instskip(SKIP_2) | instid1(VALU_DEP_3)
	v_cmp_eq_u64_e64 s1, 0, v[0:1]
	v_cndmask_b32_e64 v0, v10, 0xffffff8a, vcc_lo
	v_lshrrev_b32_e32 v2, 23, v8
	s_and_b32 vcc_lo, s1, s0
	s_delay_alu instid0(VALU_DEP_1) | instskip(SKIP_2) | instid1(VALU_DEP_2)
	v_add3_u32 v6, v0, v11, v2
	v_subrev_co_ci_u32_e32 v3, vcc_lo, 0, v8, vcc_lo
	s_mov_b32 s0, exec_lo
	v_add_nc_u32_e32 v7, -1, v6
	s_delay_alu instid0(VALU_DEP_2) | instskip(NEXT) | instid1(VALU_DEP_1)
	v_and_b32_e32 v0, 0xfffff, v3
	v_add_co_u32 v2, vcc_lo, v0, v8
	v_add_co_ci_u32_e32 v3, vcc_lo, 0, v9, vcc_lo
                                        ; implicit-def: $vgpr0
	s_delay_alu instid0(VALU_DEP_4)
	v_cmpx_ne_u32_e32 0, v7
	s_xor_b32 s0, exec_lo, s0
; %bb.3:
	s_delay_alu instid0(VALU_DEP_3) | instskip(SKIP_1) | instid1(VALU_DEP_2)
	v_and_b32_e32 v0, 0x1000000, v2
	v_bfe_u32 v8, v2, 24, 1
	v_cmp_eq_u64_e32 vcc_lo, 0, v[0:1]
	s_delay_alu instid0(VALU_DEP_2)
	v_lshrrev_b64 v[2:3], v8, v[2:3]
	v_cndmask_b32_e32 v0, v6, v7, vcc_lo
; %bb.4:
	s_and_not1_saveexec_b32 s0, s0
; %bb.5:
	s_delay_alu instid0(VALU_DEP_2)
	v_bfe_u32 v0, v2, 23, 1
; %bb.6:
	s_or_b32 exec_lo, exec_lo, s0
	s_delay_alu instid0(VALU_DEP_3) | instskip(NEXT) | instid1(VALU_DEP_2)
	v_lshrrev_b64 v[1:2], 20, v[2:3]
	v_cmp_gt_i32_e32 vcc_lo, 16, v0
	v_min_i32_e32 v3, 15, v0
	v_cmp_eq_u32_e64 s0, 0, v0
	s_delay_alu instid0(VALU_DEP_4) | instskip(NEXT) | instid1(VALU_DEP_3)
	v_dual_cndmask_b32 v2, 0, v2 :: v_dual_cndmask_b32 v1, 7, v1
	v_lshlrev_b32_e32 v3, 3, v3
	s_delay_alu instid0(VALU_DEP_2) | instskip(NEXT) | instid1(VALU_DEP_2)
	v_cmp_eq_u64_e32 vcc_lo, 0, v[1:2]
	v_and_or_b32 v0, v1, 7, v3
	s_and_b32 s0, s0, vcc_lo
	s_delay_alu instid0(VALU_DEP_1) | instid1(SALU_CYCLE_1)
	v_cndmask_b32_e64 v1, v0, 0, s0
.LBB45_7:
	s_or_b32 exec_lo, exec_lo, s2
	v_add_co_u32 v2, vcc_lo, s4, v4
	v_add_co_ci_u32_e32 v3, vcc_lo, s5, v5, vcc_lo
	global_store_b8 v[2:3], v1, off
.LBB45_8:
	s_nop 0
	s_sendmsg sendmsg(MSG_DEALLOC_VGPRS)
	s_endpgm
	.section	.rodata,"a",@progbits
	.p2align	6, 0x0
	.amdhsa_kernel _Z11fill_kernelI17hipblaslt_f8_fnuzZ21hipblaslt_init_deviceIS0_Ev8ABC_dims24hipblaslt_initializationbPT_mmmmmEUlmE0_EvS5_mmT0_
		.amdhsa_group_segment_fixed_size 0
		.amdhsa_private_segment_fixed_size 0
		.amdhsa_kernarg_size 288
		.amdhsa_user_sgpr_count 15
		.amdhsa_user_sgpr_dispatch_ptr 0
		.amdhsa_user_sgpr_queue_ptr 0
		.amdhsa_user_sgpr_kernarg_segment_ptr 1
		.amdhsa_user_sgpr_dispatch_id 0
		.amdhsa_user_sgpr_private_segment_size 0
		.amdhsa_wavefront_size32 1
		.amdhsa_uses_dynamic_stack 0
		.amdhsa_enable_private_segment 0
		.amdhsa_system_sgpr_workgroup_id_x 1
		.amdhsa_system_sgpr_workgroup_id_y 0
		.amdhsa_system_sgpr_workgroup_id_z 0
		.amdhsa_system_sgpr_workgroup_info 0
		.amdhsa_system_vgpr_workitem_id 0
		.amdhsa_next_free_vgpr 12
		.amdhsa_next_free_sgpr 16
		.amdhsa_reserve_vcc 1
		.amdhsa_float_round_mode_32 0
		.amdhsa_float_round_mode_16_64 0
		.amdhsa_float_denorm_mode_32 3
		.amdhsa_float_denorm_mode_16_64 3
		.amdhsa_dx10_clamp 1
		.amdhsa_ieee_mode 1
		.amdhsa_fp16_overflow 0
		.amdhsa_workgroup_processor_mode 1
		.amdhsa_memory_ordered 1
		.amdhsa_forward_progress 0
		.amdhsa_shared_vgpr_count 0
		.amdhsa_exception_fp_ieee_invalid_op 0
		.amdhsa_exception_fp_denorm_src 0
		.amdhsa_exception_fp_ieee_div_zero 0
		.amdhsa_exception_fp_ieee_overflow 0
		.amdhsa_exception_fp_ieee_underflow 0
		.amdhsa_exception_fp_ieee_inexact 0
		.amdhsa_exception_int_div_zero 0
	.end_amdhsa_kernel
	.section	.text._Z11fill_kernelI17hipblaslt_f8_fnuzZ21hipblaslt_init_deviceIS0_Ev8ABC_dims24hipblaslt_initializationbPT_mmmmmEUlmE0_EvS5_mmT0_,"axG",@progbits,_Z11fill_kernelI17hipblaslt_f8_fnuzZ21hipblaslt_init_deviceIS0_Ev8ABC_dims24hipblaslt_initializationbPT_mmmmmEUlmE0_EvS5_mmT0_,comdat
.Lfunc_end45:
	.size	_Z11fill_kernelI17hipblaslt_f8_fnuzZ21hipblaslt_init_deviceIS0_Ev8ABC_dims24hipblaslt_initializationbPT_mmmmmEUlmE0_EvS5_mmT0_, .Lfunc_end45-_Z11fill_kernelI17hipblaslt_f8_fnuzZ21hipblaslt_init_deviceIS0_Ev8ABC_dims24hipblaslt_initializationbPT_mmmmmEUlmE0_EvS5_mmT0_
                                        ; -- End function
	.section	.AMDGPU.csdata,"",@progbits
; Kernel info:
; codeLenInByte = 836
; NumSgprs: 18
; NumVgprs: 12
; ScratchSize: 0
; MemoryBound: 0
; FloatMode: 240
; IeeeMode: 1
; LDSByteSize: 0 bytes/workgroup (compile time only)
; SGPRBlocks: 2
; VGPRBlocks: 1
; NumSGPRsForWavesPerEU: 18
; NumVGPRsForWavesPerEU: 12
; Occupancy: 16
; WaveLimiterHint : 0
; COMPUTE_PGM_RSRC2:SCRATCH_EN: 0
; COMPUTE_PGM_RSRC2:USER_SGPR: 15
; COMPUTE_PGM_RSRC2:TRAP_HANDLER: 0
; COMPUTE_PGM_RSRC2:TGID_X_EN: 1
; COMPUTE_PGM_RSRC2:TGID_Y_EN: 0
; COMPUTE_PGM_RSRC2:TGID_Z_EN: 0
; COMPUTE_PGM_RSRC2:TIDIG_COMP_CNT: 0
	.section	.text._Z11fill_kernelI17hipblaslt_f8_fnuzZ21hipblaslt_init_deviceIS0_Ev8ABC_dims24hipblaslt_initializationbPT_mmmmmEUlmE1_EvS5_mmT0_,"axG",@progbits,_Z11fill_kernelI17hipblaslt_f8_fnuzZ21hipblaslt_init_deviceIS0_Ev8ABC_dims24hipblaslt_initializationbPT_mmmmmEUlmE1_EvS5_mmT0_,comdat
	.protected	_Z11fill_kernelI17hipblaslt_f8_fnuzZ21hipblaslt_init_deviceIS0_Ev8ABC_dims24hipblaslt_initializationbPT_mmmmmEUlmE1_EvS5_mmT0_ ; -- Begin function _Z11fill_kernelI17hipblaslt_f8_fnuzZ21hipblaslt_init_deviceIS0_Ev8ABC_dims24hipblaslt_initializationbPT_mmmmmEUlmE1_EvS5_mmT0_
	.globl	_Z11fill_kernelI17hipblaslt_f8_fnuzZ21hipblaslt_init_deviceIS0_Ev8ABC_dims24hipblaslt_initializationbPT_mmmmmEUlmE1_EvS5_mmT0_
	.p2align	8
	.type	_Z11fill_kernelI17hipblaslt_f8_fnuzZ21hipblaslt_init_deviceIS0_Ev8ABC_dims24hipblaslt_initializationbPT_mmmmmEUlmE1_EvS5_mmT0_,@function
_Z11fill_kernelI17hipblaslt_f8_fnuzZ21hipblaslt_init_deviceIS0_Ev8ABC_dims24hipblaslt_initializationbPT_mmmmmEUlmE1_EvS5_mmT0_: ; @_Z11fill_kernelI17hipblaslt_f8_fnuzZ21hipblaslt_init_deviceIS0_Ev8ABC_dims24hipblaslt_initializationbPT_mmmmmEUlmE1_EvS5_mmT0_
; %bb.0:
	s_clause 0x1
	s_load_b32 s2, s[0:1], 0x34
	s_load_b256 s[4:11], s[0:1], 0x0
	s_waitcnt lgkmcnt(0)
	s_and_b32 s2, s2, 0xffff
	s_delay_alu instid0(SALU_CYCLE_1) | instskip(SKIP_2) | instid1(VALU_DEP_1)
	v_mad_u64_u32 v[1:2], null, s15, s2, v[0:1]
	v_mov_b32_e32 v2, 0
	s_mov_b32 s2, exec_lo
	v_cmpx_gt_u64_e64 s[6:7], v[1:2]
	s_cbranch_execz .LBB46_16
; %bb.1:
	v_add_co_u32 v4, s2, v1, s8
	s_delay_alu instid0(VALU_DEP_1)
	v_add_co_ci_u32_e64 v5, null, 0, s9, s2
	s_mov_b32 s2, 0x19660d
	s_delay_alu instid0(VALU_DEP_2) | instid1(SALU_CYCLE_1)
	v_mad_u64_u32 v[0:1], null, v4, s2, 0x3c6ef35f
	s_load_b64 s[2:3], s[0:1], 0x20
	s_delay_alu instid0(VALU_DEP_1) | instskip(NEXT) | instid1(VALU_DEP_1)
	v_mad_u64_u32 v[6:7], null, 0x19660d, v5, v[1:2]
	v_mov_b32_e32 v1, v6
	s_delay_alu instid0(VALU_DEP_1) | instskip(NEXT) | instid1(VALU_DEP_1)
	v_lshlrev_b64 v[6:7], 13, v[0:1]
	v_xor_b32_e32 v1, v7, v1
	s_delay_alu instid0(VALU_DEP_2) | instskip(NEXT) | instid1(VALU_DEP_1)
	v_xor_b32_e32 v0, v6, v0
	v_lshrrev_b64 v[6:7], 17, v[0:1]
	s_delay_alu instid0(VALU_DEP_1) | instskip(NEXT) | instid1(VALU_DEP_2)
	v_xor_b32_e32 v1, v7, v1
	v_xor_b32_e32 v0, v6, v0
	s_delay_alu instid0(VALU_DEP_1) | instskip(NEXT) | instid1(VALU_DEP_1)
	v_lshlrev_b64 v[6:7], 5, v[0:1]
	v_xor_b32_e32 v1, v7, v1
	s_delay_alu instid0(VALU_DEP_2) | instskip(NEXT) | instid1(VALU_DEP_1)
	v_xor_b32_e32 v0, v6, v0
	v_lshlrev_b64 v[6:7], 13, v[0:1]
	s_delay_alu instid0(VALU_DEP_1) | instskip(NEXT) | instid1(VALU_DEP_2)
	v_xor_b32_e32 v1, v7, v1
	v_xor_b32_e32 v0, v6, v0
	s_delay_alu instid0(VALU_DEP_1) | instskip(NEXT) | instid1(VALU_DEP_1)
	v_lshrrev_b64 v[6:7], 17, v[0:1]
	v_xor_b32_e32 v1, v7, v1
	s_delay_alu instid0(VALU_DEP_2) | instskip(NEXT) | instid1(VALU_DEP_1)
	v_xor_b32_e32 v0, v6, v0
	v_lshlrev_b64 v[6:7], 5, v[0:1]
	s_delay_alu instid0(VALU_DEP_1) | instskip(NEXT) | instid1(VALU_DEP_2)
	v_xor_b32_e32 v1, v7, v1
	v_xor_b32_e32 v0, v6, v0
	s_delay_alu instid0(VALU_DEP_1) | instskip(NEXT) | instid1(VALU_DEP_1)
	v_lshlrev_b64 v[6:7], 13, v[0:1]
	v_xor_b32_e32 v1, v7, v1
	s_delay_alu instid0(VALU_DEP_2) | instskip(SKIP_1) | instid1(VALU_DEP_2)
	v_xor_b32_e32 v0, v6, v0
	v_mov_b32_e32 v6, 0x7f
	v_alignbit_b32 v1, v1, v0, 17
	s_delay_alu instid0(VALU_DEP_1) | instskip(NEXT) | instid1(VALU_DEP_1)
	v_xor_b32_e32 v0, v1, v0
	v_lshlrev_b32_e32 v1, 5, v0
	s_delay_alu instid0(VALU_DEP_1) | instskip(NEXT) | instid1(VALU_DEP_1)
	v_xor_b32_e32 v0, v1, v0
	v_mul_hi_u32 v1, 0xcccccccd, v0
	s_delay_alu instid0(VALU_DEP_1) | instskip(NEXT) | instid1(VALU_DEP_1)
	v_lshrrev_b32_e32 v1, 3, v1
	v_mul_lo_u32 v1, v1, 10
	s_delay_alu instid0(VALU_DEP_1) | instskip(NEXT) | instid1(VALU_DEP_1)
	v_sub_nc_u32_e32 v0, v0, v1
	v_add_nc_u32_e32 v0, 1, v0
	s_delay_alu instid0(VALU_DEP_1) | instskip(NEXT) | instid1(VALU_DEP_1)
	v_cvt_f32_u32_e32 v0, v0
	v_and_b32_e32 v1, 0x7f800000, v0
	v_cmp_gt_u32_e64 s0, 0x43700001, v0
	s_delay_alu instid0(VALU_DEP_2) | instskip(NEXT) | instid1(VALU_DEP_2)
	v_cmp_ne_u64_e32 vcc_lo, 0x7f800000, v[1:2]
	s_and_b32 s0, s0, vcc_lo
	s_delay_alu instid0(SALU_CYCLE_1)
	s_and_saveexec_b32 s6, s0
	s_cbranch_execz .LBB46_7
; %bb.2:
	v_lshrrev_b32_e32 v10, 23, v0
	v_cmp_gt_u32_e32 vcc_lo, 0x800000, v0
	v_and_b32_e32 v2, 0x7fffff, v0
	s_delay_alu instid0(VALU_DEP_3) | instskip(SKIP_1) | instid1(VALU_DEP_2)
	v_sub_nc_u32_e64 v1, 0x78, v10 clamp
	v_add_nc_u32_e32 v10, 0xffffff89, v10
	v_cndmask_b32_e64 v11, v1, 0x77, vcc_lo
	v_mov_b32_e32 v1, 0
	v_or_b32_e32 v0, 0x800000, v2
	s_delay_alu instid0(VALU_DEP_3) | instskip(SKIP_1) | instid1(VALU_DEP_3)
	v_add_nc_u32_e32 v3, 20, v11
	v_add_nc_u32_e32 v6, 19, v11
	v_cndmask_b32_e32 v0, v0, v2, vcc_lo
	s_delay_alu instid0(VALU_DEP_3) | instskip(SKIP_1) | instid1(VALU_DEP_3)
	v_lshlrev_b64 v[2:3], v3, -1
	v_mov_b32_e32 v3, v1
	v_lshrrev_b64 v[8:9], v11, v[0:1]
	v_lshlrev_b64 v[6:7], v6, 1
	s_delay_alu instid0(VALU_DEP_4) | instskip(NEXT) | instid1(VALU_DEP_1)
	v_not_b32_e32 v2, v2
	v_and_b32_e32 v2, v0, v2
	s_delay_alu instid0(VALU_DEP_4) | instskip(NEXT) | instid1(VALU_DEP_2)
	v_and_b32_e32 v0, 0x100000, v8
	v_cmp_eq_u64_e64 s0, v[2:3], v[6:7]
	s_delay_alu instid0(VALU_DEP_2) | instskip(SKIP_2) | instid1(VALU_DEP_3)
	v_cmp_eq_u64_e64 s1, 0, v[0:1]
	v_cndmask_b32_e64 v0, v10, 0xffffff8a, vcc_lo
	v_lshrrev_b32_e32 v2, 23, v8
	s_and_b32 vcc_lo, s1, s0
	s_delay_alu instid0(VALU_DEP_1) | instskip(SKIP_2) | instid1(VALU_DEP_2)
	v_add3_u32 v6, v0, v11, v2
	v_subrev_co_ci_u32_e32 v3, vcc_lo, 0, v8, vcc_lo
	s_mov_b32 s0, exec_lo
	v_add_nc_u32_e32 v7, -1, v6
	s_delay_alu instid0(VALU_DEP_2) | instskip(NEXT) | instid1(VALU_DEP_1)
	v_and_b32_e32 v0, 0xfffff, v3
	v_add_co_u32 v2, vcc_lo, v0, v8
	v_add_co_ci_u32_e32 v3, vcc_lo, 0, v9, vcc_lo
                                        ; implicit-def: $vgpr0
	s_delay_alu instid0(VALU_DEP_4)
	v_cmpx_ne_u32_e32 0, v7
	s_xor_b32 s0, exec_lo, s0
; %bb.3:
	s_delay_alu instid0(VALU_DEP_3) | instskip(SKIP_1) | instid1(VALU_DEP_2)
	v_and_b32_e32 v0, 0x1000000, v2
	v_bfe_u32 v8, v2, 24, 1
	v_cmp_eq_u64_e32 vcc_lo, 0, v[0:1]
	s_delay_alu instid0(VALU_DEP_2)
	v_lshrrev_b64 v[2:3], v8, v[2:3]
	v_cndmask_b32_e32 v0, v6, v7, vcc_lo
; %bb.4:
	s_and_not1_saveexec_b32 s0, s0
; %bb.5:
	s_delay_alu instid0(VALU_DEP_2)
	v_bfe_u32 v0, v2, 23, 1
; %bb.6:
	s_or_b32 exec_lo, exec_lo, s0
	s_delay_alu instid0(VALU_DEP_3) | instskip(NEXT) | instid1(VALU_DEP_2)
	v_lshrrev_b64 v[1:2], 20, v[2:3]
	v_cmp_gt_i32_e32 vcc_lo, 16, v0
	v_min_i32_e32 v3, 15, v0
	v_cmp_eq_u32_e64 s0, 0, v0
	s_delay_alu instid0(VALU_DEP_4) | instskip(NEXT) | instid1(VALU_DEP_3)
	v_dual_cndmask_b32 v2, 0, v2 :: v_dual_cndmask_b32 v1, 7, v1
	v_lshlrev_b32_e32 v3, 3, v3
	s_delay_alu instid0(VALU_DEP_2) | instskip(NEXT) | instid1(VALU_DEP_2)
	v_cmp_eq_u64_e32 vcc_lo, 0, v[1:2]
	v_and_or_b32 v0, v1, 7, v3
	s_and_b32 s0, s0, vcc_lo
	s_delay_alu instid0(VALU_DEP_1) | instid1(SALU_CYCLE_1)
	v_cndmask_b32_e64 v6, v0, 0, s0
.LBB46_7:
	s_or_b32 exec_lo, exec_lo, s6
	v_or_b32_e32 v1, s11, v5
	v_mov_b32_e32 v0, 0
	s_delay_alu instid0(VALU_DEP_1) | instskip(SKIP_1) | instid1(SALU_CYCLE_1)
	v_cmp_ne_u64_e32 vcc_lo, 0, v[0:1]
                                        ; implicit-def: $vgpr0_vgpr1
	s_and_saveexec_b32 s0, vcc_lo
	s_xor_b32 s1, exec_lo, s0
	s_cbranch_execz .LBB46_9
; %bb.8:
	v_cvt_f32_u32_e32 v0, s10
	v_cvt_f32_u32_e32 v1, s11
	s_sub_u32 s0, 0, s10
	s_subb_u32 s6, 0, s11
	s_delay_alu instid0(VALU_DEP_1) | instskip(NEXT) | instid1(VALU_DEP_1)
	v_fmamk_f32 v0, v1, 0x4f800000, v0
	v_rcp_f32_e32 v0, v0
	s_waitcnt_depctr 0xfff
	v_mul_f32_e32 v0, 0x5f7ffffc, v0
	s_delay_alu instid0(VALU_DEP_1) | instskip(NEXT) | instid1(VALU_DEP_1)
	v_mul_f32_e32 v1, 0x2f800000, v0
	v_trunc_f32_e32 v1, v1
	s_delay_alu instid0(VALU_DEP_1) | instskip(SKIP_1) | instid1(VALU_DEP_2)
	v_fmamk_f32 v0, v1, 0xcf800000, v0
	v_cvt_u32_f32_e32 v1, v1
	v_cvt_u32_f32_e32 v0, v0
	s_delay_alu instid0(VALU_DEP_2) | instskip(NEXT) | instid1(VALU_DEP_2)
	v_mul_lo_u32 v2, s0, v1
	v_mul_hi_u32 v3, s0, v0
	v_mul_lo_u32 v7, s6, v0
	s_delay_alu instid0(VALU_DEP_2) | instskip(SKIP_1) | instid1(VALU_DEP_2)
	v_add_nc_u32_e32 v2, v3, v2
	v_mul_lo_u32 v3, s0, v0
	v_add_nc_u32_e32 v2, v2, v7
	s_delay_alu instid0(VALU_DEP_2) | instskip(NEXT) | instid1(VALU_DEP_2)
	v_mul_hi_u32 v7, v0, v3
	v_mul_lo_u32 v8, v0, v2
	v_mul_hi_u32 v9, v0, v2
	v_mul_hi_u32 v10, v1, v3
	v_mul_lo_u32 v3, v1, v3
	v_mul_hi_u32 v11, v1, v2
	v_mul_lo_u32 v2, v1, v2
	v_add_co_u32 v7, vcc_lo, v7, v8
	v_add_co_ci_u32_e32 v8, vcc_lo, 0, v9, vcc_lo
	s_delay_alu instid0(VALU_DEP_2) | instskip(NEXT) | instid1(VALU_DEP_2)
	v_add_co_u32 v3, vcc_lo, v7, v3
	v_add_co_ci_u32_e32 v3, vcc_lo, v8, v10, vcc_lo
	v_add_co_ci_u32_e32 v7, vcc_lo, 0, v11, vcc_lo
	s_delay_alu instid0(VALU_DEP_2) | instskip(NEXT) | instid1(VALU_DEP_2)
	v_add_co_u32 v2, vcc_lo, v3, v2
	v_add_co_ci_u32_e32 v3, vcc_lo, 0, v7, vcc_lo
	s_delay_alu instid0(VALU_DEP_2) | instskip(NEXT) | instid1(VALU_DEP_2)
	v_add_co_u32 v0, vcc_lo, v0, v2
	v_add_co_ci_u32_e32 v1, vcc_lo, v1, v3, vcc_lo
	s_delay_alu instid0(VALU_DEP_2) | instskip(SKIP_1) | instid1(VALU_DEP_3)
	v_mul_hi_u32 v2, s0, v0
	v_mul_lo_u32 v7, s6, v0
	v_mul_lo_u32 v3, s0, v1
	s_delay_alu instid0(VALU_DEP_1) | instskip(SKIP_1) | instid1(VALU_DEP_2)
	v_add_nc_u32_e32 v2, v2, v3
	v_mul_lo_u32 v3, s0, v0
	v_add_nc_u32_e32 v2, v2, v7
	s_delay_alu instid0(VALU_DEP_2) | instskip(NEXT) | instid1(VALU_DEP_2)
	v_mul_hi_u32 v7, v0, v3
	v_mul_lo_u32 v8, v0, v2
	v_mul_hi_u32 v9, v0, v2
	v_mul_hi_u32 v10, v1, v3
	v_mul_lo_u32 v3, v1, v3
	v_mul_hi_u32 v11, v1, v2
	v_mul_lo_u32 v2, v1, v2
	v_add_co_u32 v7, vcc_lo, v7, v8
	v_add_co_ci_u32_e32 v8, vcc_lo, 0, v9, vcc_lo
	s_delay_alu instid0(VALU_DEP_2) | instskip(NEXT) | instid1(VALU_DEP_2)
	v_add_co_u32 v3, vcc_lo, v7, v3
	v_add_co_ci_u32_e32 v3, vcc_lo, v8, v10, vcc_lo
	v_add_co_ci_u32_e32 v7, vcc_lo, 0, v11, vcc_lo
	s_delay_alu instid0(VALU_DEP_2) | instskip(NEXT) | instid1(VALU_DEP_2)
	v_add_co_u32 v2, vcc_lo, v3, v2
	v_add_co_ci_u32_e32 v3, vcc_lo, 0, v7, vcc_lo
	s_delay_alu instid0(VALU_DEP_2) | instskip(NEXT) | instid1(VALU_DEP_2)
	v_add_co_u32 v7, vcc_lo, v0, v2
	v_add_co_ci_u32_e32 v9, vcc_lo, v1, v3, vcc_lo
	s_delay_alu instid0(VALU_DEP_2) | instskip(SKIP_1) | instid1(VALU_DEP_3)
	v_mul_hi_u32 v10, v4, v7
	v_mad_u64_u32 v[2:3], null, v5, v7, 0
	v_mad_u64_u32 v[0:1], null, v4, v9, 0
	;; [unrolled: 1-line block ×3, first 2 shown]
	s_delay_alu instid0(VALU_DEP_2) | instskip(NEXT) | instid1(VALU_DEP_3)
	v_add_co_u32 v0, vcc_lo, v10, v0
	v_add_co_ci_u32_e32 v1, vcc_lo, 0, v1, vcc_lo
	s_delay_alu instid0(VALU_DEP_2) | instskip(NEXT) | instid1(VALU_DEP_2)
	v_add_co_u32 v0, vcc_lo, v0, v2
	v_add_co_ci_u32_e32 v0, vcc_lo, v1, v3, vcc_lo
	v_add_co_ci_u32_e32 v1, vcc_lo, 0, v8, vcc_lo
	s_delay_alu instid0(VALU_DEP_2) | instskip(NEXT) | instid1(VALU_DEP_2)
	v_add_co_u32 v2, vcc_lo, v0, v7
	v_add_co_ci_u32_e32 v3, vcc_lo, 0, v1, vcc_lo
	s_delay_alu instid0(VALU_DEP_2) | instskip(SKIP_1) | instid1(VALU_DEP_3)
	v_mul_lo_u32 v7, s11, v2
	v_mad_u64_u32 v[0:1], null, s10, v2, 0
	v_mul_lo_u32 v2, s10, v3
	s_delay_alu instid0(VALU_DEP_2) | instskip(NEXT) | instid1(VALU_DEP_2)
	v_sub_co_u32 v0, vcc_lo, v4, v0
	v_add3_u32 v1, v1, v2, v7
	s_delay_alu instid0(VALU_DEP_1) | instskip(NEXT) | instid1(VALU_DEP_1)
	v_sub_nc_u32_e32 v2, v5, v1
	v_subrev_co_ci_u32_e64 v2, s0, s11, v2, vcc_lo
	v_sub_co_ci_u32_e32 v1, vcc_lo, v5, v1, vcc_lo
	v_sub_co_u32 v3, vcc_lo, v0, s10
	s_delay_alu instid0(VALU_DEP_1) | instskip(SKIP_3) | instid1(VALU_DEP_3)
	v_subrev_co_ci_u32_e64 v7, s0, 0, v2, vcc_lo
	v_cmp_le_u32_e64 s0, s10, v0
	v_subrev_co_ci_u32_e32 v2, vcc_lo, s11, v2, vcc_lo
	v_cmp_le_u32_e32 vcc_lo, s11, v1
	v_cndmask_b32_e64 v8, 0, -1, s0
	v_cmp_le_u32_e64 s0, s10, v3
	v_cndmask_b32_e64 v11, 0, -1, vcc_lo
	v_cmp_eq_u32_e32 vcc_lo, s11, v7
	s_delay_alu instid0(VALU_DEP_3) | instskip(SKIP_1) | instid1(VALU_DEP_1)
	v_cndmask_b32_e64 v9, 0, -1, s0
	v_cmp_le_u32_e64 s0, s11, v7
	v_cndmask_b32_e64 v10, 0, -1, s0
	v_cmp_eq_u32_e64 s0, s11, v1
	s_delay_alu instid0(VALU_DEP_2) | instskip(SKIP_2) | instid1(VALU_DEP_3)
	v_cndmask_b32_e32 v9, v10, v9, vcc_lo
	v_sub_co_u32 v10, vcc_lo, v3, s10
	v_subrev_co_ci_u32_e32 v2, vcc_lo, 0, v2, vcc_lo
	v_cmp_ne_u32_e32 vcc_lo, 0, v9
	v_cndmask_b32_e64 v8, v11, v8, s0
	s_delay_alu instid0(VALU_DEP_3) | instskip(SKIP_1) | instid1(VALU_DEP_3)
	v_cndmask_b32_e32 v2, v7, v2, vcc_lo
	v_cndmask_b32_e32 v3, v3, v10, vcc_lo
	v_cmp_ne_u32_e32 vcc_lo, 0, v8
	s_delay_alu instid0(VALU_DEP_2)
	v_dual_cndmask_b32 v1, v1, v2 :: v_dual_cndmask_b32 v0, v0, v3
.LBB46_9:
	s_and_not1_saveexec_b32 s0, s1
	s_cbranch_execz .LBB46_11
; %bb.10:
	v_cvt_f32_u32_e32 v0, s10
	s_sub_i32 s1, 0, s10
	s_delay_alu instid0(VALU_DEP_1) | instskip(SKIP_2) | instid1(VALU_DEP_1)
	v_rcp_iflag_f32_e32 v0, v0
	s_waitcnt_depctr 0xfff
	v_mul_f32_e32 v0, 0x4f7ffffe, v0
	v_cvt_u32_f32_e32 v0, v0
	s_delay_alu instid0(VALU_DEP_1) | instskip(NEXT) | instid1(VALU_DEP_1)
	v_mul_lo_u32 v1, s1, v0
	v_mul_hi_u32 v1, v0, v1
	s_delay_alu instid0(VALU_DEP_1) | instskip(NEXT) | instid1(VALU_DEP_1)
	v_add_nc_u32_e32 v0, v0, v1
	v_mul_hi_u32 v0, v4, v0
	s_delay_alu instid0(VALU_DEP_1) | instskip(NEXT) | instid1(VALU_DEP_1)
	v_mul_lo_u32 v0, v0, s10
	v_sub_nc_u32_e32 v0, v4, v0
	s_delay_alu instid0(VALU_DEP_1) | instskip(SKIP_1) | instid1(VALU_DEP_2)
	v_subrev_nc_u32_e32 v1, s10, v0
	v_cmp_le_u32_e32 vcc_lo, s10, v0
	v_cndmask_b32_e32 v0, v0, v1, vcc_lo
	s_delay_alu instid0(VALU_DEP_1) | instskip(SKIP_1) | instid1(VALU_DEP_2)
	v_subrev_nc_u32_e32 v1, s10, v0
	v_cmp_le_u32_e32 vcc_lo, s10, v0
	v_dual_cndmask_b32 v0, v0, v1 :: v_dual_mov_b32 v1, 0
.LBB46_11:
	s_or_b32 exec_lo, exec_lo, s0
	s_waitcnt lgkmcnt(0)
	s_delay_alu instid0(VALU_DEP_1) | instskip(SKIP_1) | instid1(VALU_DEP_1)
	v_or_b32_e32 v3, s3, v1
	v_mov_b32_e32 v2, 0
	v_cmp_ne_u64_e32 vcc_lo, 0, v[2:3]
                                        ; implicit-def: $vgpr2_vgpr3
	s_and_saveexec_b32 s0, vcc_lo
	s_delay_alu instid0(SALU_CYCLE_1)
	s_xor_b32 s1, exec_lo, s0
	s_cbranch_execz .LBB46_13
; %bb.12:
	v_cvt_f32_u32_e32 v2, s2
	v_cvt_f32_u32_e32 v3, s3
	s_sub_u32 s0, 0, s2
	s_subb_u32 s6, 0, s3
	s_delay_alu instid0(VALU_DEP_1) | instskip(NEXT) | instid1(VALU_DEP_1)
	v_fmamk_f32 v2, v3, 0x4f800000, v2
	v_rcp_f32_e32 v2, v2
	s_waitcnt_depctr 0xfff
	v_mul_f32_e32 v2, 0x5f7ffffc, v2
	s_delay_alu instid0(VALU_DEP_1) | instskip(NEXT) | instid1(VALU_DEP_1)
	v_mul_f32_e32 v3, 0x2f800000, v2
	v_trunc_f32_e32 v3, v3
	s_delay_alu instid0(VALU_DEP_1) | instskip(SKIP_1) | instid1(VALU_DEP_2)
	v_fmamk_f32 v2, v3, 0xcf800000, v2
	v_cvt_u32_f32_e32 v3, v3
	v_cvt_u32_f32_e32 v2, v2
	s_delay_alu instid0(VALU_DEP_2) | instskip(NEXT) | instid1(VALU_DEP_2)
	v_mul_lo_u32 v7, s0, v3
	v_mul_hi_u32 v8, s0, v2
	v_mul_lo_u32 v9, s6, v2
	s_delay_alu instid0(VALU_DEP_2) | instskip(SKIP_1) | instid1(VALU_DEP_2)
	v_add_nc_u32_e32 v7, v8, v7
	v_mul_lo_u32 v8, s0, v2
	v_add_nc_u32_e32 v7, v7, v9
	s_delay_alu instid0(VALU_DEP_2) | instskip(NEXT) | instid1(VALU_DEP_2)
	v_mul_hi_u32 v9, v2, v8
	v_mul_lo_u32 v10, v2, v7
	v_mul_hi_u32 v11, v2, v7
	v_mul_hi_u32 v12, v3, v8
	v_mul_lo_u32 v8, v3, v8
	v_mul_hi_u32 v13, v3, v7
	v_mul_lo_u32 v7, v3, v7
	v_add_co_u32 v9, vcc_lo, v9, v10
	v_add_co_ci_u32_e32 v10, vcc_lo, 0, v11, vcc_lo
	s_delay_alu instid0(VALU_DEP_2) | instskip(NEXT) | instid1(VALU_DEP_2)
	v_add_co_u32 v8, vcc_lo, v9, v8
	v_add_co_ci_u32_e32 v8, vcc_lo, v10, v12, vcc_lo
	v_add_co_ci_u32_e32 v9, vcc_lo, 0, v13, vcc_lo
	s_delay_alu instid0(VALU_DEP_2) | instskip(NEXT) | instid1(VALU_DEP_2)
	v_add_co_u32 v7, vcc_lo, v8, v7
	v_add_co_ci_u32_e32 v8, vcc_lo, 0, v9, vcc_lo
	s_delay_alu instid0(VALU_DEP_2) | instskip(NEXT) | instid1(VALU_DEP_2)
	v_add_co_u32 v2, vcc_lo, v2, v7
	v_add_co_ci_u32_e32 v3, vcc_lo, v3, v8, vcc_lo
	s_delay_alu instid0(VALU_DEP_2) | instskip(SKIP_1) | instid1(VALU_DEP_3)
	v_mul_hi_u32 v7, s0, v2
	v_mul_lo_u32 v9, s6, v2
	v_mul_lo_u32 v8, s0, v3
	s_delay_alu instid0(VALU_DEP_1) | instskip(SKIP_1) | instid1(VALU_DEP_2)
	v_add_nc_u32_e32 v7, v7, v8
	v_mul_lo_u32 v8, s0, v2
	v_add_nc_u32_e32 v7, v7, v9
	s_delay_alu instid0(VALU_DEP_2) | instskip(NEXT) | instid1(VALU_DEP_2)
	v_mul_hi_u32 v9, v2, v8
	v_mul_lo_u32 v10, v2, v7
	v_mul_hi_u32 v11, v2, v7
	v_mul_hi_u32 v12, v3, v8
	v_mul_lo_u32 v8, v3, v8
	v_mul_hi_u32 v13, v3, v7
	v_mul_lo_u32 v7, v3, v7
	v_add_co_u32 v9, vcc_lo, v9, v10
	v_add_co_ci_u32_e32 v10, vcc_lo, 0, v11, vcc_lo
	s_delay_alu instid0(VALU_DEP_2) | instskip(NEXT) | instid1(VALU_DEP_2)
	v_add_co_u32 v8, vcc_lo, v9, v8
	v_add_co_ci_u32_e32 v8, vcc_lo, v10, v12, vcc_lo
	v_add_co_ci_u32_e32 v9, vcc_lo, 0, v13, vcc_lo
	s_delay_alu instid0(VALU_DEP_2) | instskip(NEXT) | instid1(VALU_DEP_2)
	v_add_co_u32 v7, vcc_lo, v8, v7
	v_add_co_ci_u32_e32 v8, vcc_lo, 0, v9, vcc_lo
	s_delay_alu instid0(VALU_DEP_2) | instskip(NEXT) | instid1(VALU_DEP_2)
	v_add_co_u32 v9, vcc_lo, v2, v7
	v_add_co_ci_u32_e32 v11, vcc_lo, v3, v8, vcc_lo
	s_delay_alu instid0(VALU_DEP_2) | instskip(SKIP_1) | instid1(VALU_DEP_3)
	v_mul_hi_u32 v12, v0, v9
	v_mad_u64_u32 v[7:8], null, v1, v9, 0
	v_mad_u64_u32 v[2:3], null, v0, v11, 0
	;; [unrolled: 1-line block ×3, first 2 shown]
	s_delay_alu instid0(VALU_DEP_2) | instskip(NEXT) | instid1(VALU_DEP_3)
	v_add_co_u32 v2, vcc_lo, v12, v2
	v_add_co_ci_u32_e32 v3, vcc_lo, 0, v3, vcc_lo
	s_delay_alu instid0(VALU_DEP_2) | instskip(NEXT) | instid1(VALU_DEP_2)
	v_add_co_u32 v2, vcc_lo, v2, v7
	v_add_co_ci_u32_e32 v2, vcc_lo, v3, v8, vcc_lo
	v_add_co_ci_u32_e32 v3, vcc_lo, 0, v10, vcc_lo
	s_delay_alu instid0(VALU_DEP_2) | instskip(NEXT) | instid1(VALU_DEP_2)
	v_add_co_u32 v7, vcc_lo, v2, v9
	v_add_co_ci_u32_e32 v8, vcc_lo, 0, v3, vcc_lo
	s_delay_alu instid0(VALU_DEP_2) | instskip(SKIP_1) | instid1(VALU_DEP_3)
	v_mul_lo_u32 v9, s3, v7
	v_mad_u64_u32 v[2:3], null, s2, v7, 0
	v_mul_lo_u32 v8, s2, v8
	s_delay_alu instid0(VALU_DEP_2) | instskip(NEXT) | instid1(VALU_DEP_2)
	v_sub_co_u32 v2, vcc_lo, v0, v2
	v_add3_u32 v3, v3, v8, v9
	v_add_co_u32 v9, s0, v7, 2
	s_delay_alu instid0(VALU_DEP_2) | instskip(NEXT) | instid1(VALU_DEP_1)
	v_sub_nc_u32_e32 v8, v1, v3
	v_subrev_co_ci_u32_e64 v8, s0, s3, v8, vcc_lo
	v_sub_co_u32 v10, s0, v2, s2
	v_sub_co_ci_u32_e32 v1, vcc_lo, v1, v3, vcc_lo
	s_delay_alu instid0(VALU_DEP_3) | instskip(NEXT) | instid1(VALU_DEP_3)
	v_subrev_co_ci_u32_e64 v8, s0, 0, v8, s0
	v_cmp_le_u32_e32 vcc_lo, s2, v10
	v_cndmask_b32_e64 v3, 0, -1, vcc_lo
	s_delay_alu instid0(VALU_DEP_3)
	v_cmp_le_u32_e32 vcc_lo, s3, v8
	v_cndmask_b32_e64 v10, 0, -1, vcc_lo
	v_cmp_le_u32_e32 vcc_lo, s2, v2
	v_cndmask_b32_e64 v2, 0, -1, vcc_lo
	;; [unrolled: 2-line block ×3, first 2 shown]
	v_cmp_eq_u32_e32 vcc_lo, s3, v8
	v_cndmask_b32_e32 v3, v10, v3, vcc_lo
	v_add_co_u32 v8, vcc_lo, v7, 1
	v_cmp_eq_u32_e32 vcc_lo, s3, v1
	v_cndmask_b32_e32 v1, v11, v2, vcc_lo
	s_delay_alu instid0(VALU_DEP_4) | instskip(NEXT) | instid1(VALU_DEP_4)
	v_cmp_ne_u32_e32 vcc_lo, 0, v3
	v_cndmask_b32_e32 v2, v8, v9, vcc_lo
	s_delay_alu instid0(VALU_DEP_3) | instskip(NEXT) | instid1(VALU_DEP_2)
	v_cmp_ne_u32_e32 vcc_lo, 0, v1
	v_cndmask_b32_e32 v2, v7, v2, vcc_lo
.LBB46_13:
	s_and_not1_saveexec_b32 s0, s1
	s_cbranch_execz .LBB46_15
; %bb.14:
	v_cvt_f32_u32_e32 v1, s2
	s_sub_i32 s1, 0, s2
	s_delay_alu instid0(VALU_DEP_1) | instskip(SKIP_2) | instid1(VALU_DEP_1)
	v_rcp_iflag_f32_e32 v1, v1
	s_waitcnt_depctr 0xfff
	v_mul_f32_e32 v1, 0x4f7ffffe, v1
	v_cvt_u32_f32_e32 v1, v1
	s_delay_alu instid0(VALU_DEP_1) | instskip(NEXT) | instid1(VALU_DEP_1)
	v_mul_lo_u32 v2, s1, v1
	v_mul_hi_u32 v2, v1, v2
	s_delay_alu instid0(VALU_DEP_1) | instskip(NEXT) | instid1(VALU_DEP_1)
	v_add_nc_u32_e32 v1, v1, v2
	v_mul_hi_u32 v1, v0, v1
	s_delay_alu instid0(VALU_DEP_1) | instskip(SKIP_1) | instid1(VALU_DEP_2)
	v_mul_lo_u32 v2, v1, s2
	v_add_nc_u32_e32 v3, 1, v1
	v_sub_nc_u32_e32 v2, v0, v2
	s_delay_alu instid0(VALU_DEP_1) | instskip(SKIP_1) | instid1(VALU_DEP_2)
	v_subrev_nc_u32_e32 v7, s2, v2
	v_cmp_le_u32_e32 vcc_lo, s2, v2
	v_cndmask_b32_e32 v2, v2, v7, vcc_lo
	v_cndmask_b32_e32 v1, v1, v3, vcc_lo
	s_delay_alu instid0(VALU_DEP_2) | instskip(NEXT) | instid1(VALU_DEP_2)
	v_cmp_le_u32_e32 vcc_lo, s2, v2
	v_add_nc_u32_e32 v3, 1, v1
	s_delay_alu instid0(VALU_DEP_1)
	v_cndmask_b32_e32 v2, v1, v3, vcc_lo
.LBB46_15:
	s_or_b32 exec_lo, exec_lo, s0
	s_delay_alu instid0(VALU_DEP_1) | instskip(NEXT) | instid1(VALU_DEP_1)
	v_mul_lo_u32 v1, v2, s2
	v_sub_nc_u32_e32 v0, v0, v1
	v_xor_b32_e32 v1, 0x80, v6
	s_delay_alu instid0(VALU_DEP_2) | instskip(NEXT) | instid1(VALU_DEP_1)
	v_xor_b32_e32 v0, v0, v2
	v_and_b32_e32 v0, 1, v0
	s_delay_alu instid0(VALU_DEP_1) | instskip(NEXT) | instid1(VALU_DEP_4)
	v_cmp_eq_u32_e32 vcc_lo, 0, v0
	v_cndmask_b32_e32 v2, v6, v1, vcc_lo
	v_add_co_u32 v0, vcc_lo, s4, v4
	v_add_co_ci_u32_e32 v1, vcc_lo, s5, v5, vcc_lo
	global_store_b8 v[0:1], v2, off
.LBB46_16:
	s_nop 0
	s_sendmsg sendmsg(MSG_DEALLOC_VGPRS)
	s_endpgm
	.section	.rodata,"a",@progbits
	.p2align	6, 0x0
	.amdhsa_kernel _Z11fill_kernelI17hipblaslt_f8_fnuzZ21hipblaslt_init_deviceIS0_Ev8ABC_dims24hipblaslt_initializationbPT_mmmmmEUlmE1_EvS5_mmT0_
		.amdhsa_group_segment_fixed_size 0
		.amdhsa_private_segment_fixed_size 0
		.amdhsa_kernarg_size 296
		.amdhsa_user_sgpr_count 15
		.amdhsa_user_sgpr_dispatch_ptr 0
		.amdhsa_user_sgpr_queue_ptr 0
		.amdhsa_user_sgpr_kernarg_segment_ptr 1
		.amdhsa_user_sgpr_dispatch_id 0
		.amdhsa_user_sgpr_private_segment_size 0
		.amdhsa_wavefront_size32 1
		.amdhsa_uses_dynamic_stack 0
		.amdhsa_enable_private_segment 0
		.amdhsa_system_sgpr_workgroup_id_x 1
		.amdhsa_system_sgpr_workgroup_id_y 0
		.amdhsa_system_sgpr_workgroup_id_z 0
		.amdhsa_system_sgpr_workgroup_info 0
		.amdhsa_system_vgpr_workitem_id 0
		.amdhsa_next_free_vgpr 14
		.amdhsa_next_free_sgpr 16
		.amdhsa_reserve_vcc 1
		.amdhsa_float_round_mode_32 0
		.amdhsa_float_round_mode_16_64 0
		.amdhsa_float_denorm_mode_32 3
		.amdhsa_float_denorm_mode_16_64 3
		.amdhsa_dx10_clamp 1
		.amdhsa_ieee_mode 1
		.amdhsa_fp16_overflow 0
		.amdhsa_workgroup_processor_mode 1
		.amdhsa_memory_ordered 1
		.amdhsa_forward_progress 0
		.amdhsa_shared_vgpr_count 0
		.amdhsa_exception_fp_ieee_invalid_op 0
		.amdhsa_exception_fp_denorm_src 0
		.amdhsa_exception_fp_ieee_div_zero 0
		.amdhsa_exception_fp_ieee_overflow 0
		.amdhsa_exception_fp_ieee_underflow 0
		.amdhsa_exception_fp_ieee_inexact 0
		.amdhsa_exception_int_div_zero 0
	.end_amdhsa_kernel
	.section	.text._Z11fill_kernelI17hipblaslt_f8_fnuzZ21hipblaslt_init_deviceIS0_Ev8ABC_dims24hipblaslt_initializationbPT_mmmmmEUlmE1_EvS5_mmT0_,"axG",@progbits,_Z11fill_kernelI17hipblaslt_f8_fnuzZ21hipblaslt_init_deviceIS0_Ev8ABC_dims24hipblaslt_initializationbPT_mmmmmEUlmE1_EvS5_mmT0_,comdat
.Lfunc_end46:
	.size	_Z11fill_kernelI17hipblaslt_f8_fnuzZ21hipblaslt_init_deviceIS0_Ev8ABC_dims24hipblaslt_initializationbPT_mmmmmEUlmE1_EvS5_mmT0_, .Lfunc_end46-_Z11fill_kernelI17hipblaslt_f8_fnuzZ21hipblaslt_init_deviceIS0_Ev8ABC_dims24hipblaslt_initializationbPT_mmmmmEUlmE1_EvS5_mmT0_
                                        ; -- End function
	.section	.AMDGPU.csdata,"",@progbits
; Kernel info:
; codeLenInByte = 2668
; NumSgprs: 18
; NumVgprs: 14
; ScratchSize: 0
; MemoryBound: 0
; FloatMode: 240
; IeeeMode: 1
; LDSByteSize: 0 bytes/workgroup (compile time only)
; SGPRBlocks: 2
; VGPRBlocks: 1
; NumSGPRsForWavesPerEU: 18
; NumVGPRsForWavesPerEU: 14
; Occupancy: 16
; WaveLimiterHint : 0
; COMPUTE_PGM_RSRC2:SCRATCH_EN: 0
; COMPUTE_PGM_RSRC2:USER_SGPR: 15
; COMPUTE_PGM_RSRC2:TRAP_HANDLER: 0
; COMPUTE_PGM_RSRC2:TGID_X_EN: 1
; COMPUTE_PGM_RSRC2:TGID_Y_EN: 0
; COMPUTE_PGM_RSRC2:TGID_Z_EN: 0
; COMPUTE_PGM_RSRC2:TIDIG_COMP_CNT: 0
	.section	.text._Z11fill_kernelI17hipblaslt_f8_fnuzZ21hipblaslt_init_deviceIS0_Ev8ABC_dims24hipblaslt_initializationbPT_mmmmmEUlmE2_EvS5_mmT0_,"axG",@progbits,_Z11fill_kernelI17hipblaslt_f8_fnuzZ21hipblaslt_init_deviceIS0_Ev8ABC_dims24hipblaslt_initializationbPT_mmmmmEUlmE2_EvS5_mmT0_,comdat
	.protected	_Z11fill_kernelI17hipblaslt_f8_fnuzZ21hipblaslt_init_deviceIS0_Ev8ABC_dims24hipblaslt_initializationbPT_mmmmmEUlmE2_EvS5_mmT0_ ; -- Begin function _Z11fill_kernelI17hipblaslt_f8_fnuzZ21hipblaslt_init_deviceIS0_Ev8ABC_dims24hipblaslt_initializationbPT_mmmmmEUlmE2_EvS5_mmT0_
	.globl	_Z11fill_kernelI17hipblaslt_f8_fnuzZ21hipblaslt_init_deviceIS0_Ev8ABC_dims24hipblaslt_initializationbPT_mmmmmEUlmE2_EvS5_mmT0_
	.p2align	8
	.type	_Z11fill_kernelI17hipblaslt_f8_fnuzZ21hipblaslt_init_deviceIS0_Ev8ABC_dims24hipblaslt_initializationbPT_mmmmmEUlmE2_EvS5_mmT0_,@function
_Z11fill_kernelI17hipblaslt_f8_fnuzZ21hipblaslt_init_deviceIS0_Ev8ABC_dims24hipblaslt_initializationbPT_mmmmmEUlmE2_EvS5_mmT0_: ; @_Z11fill_kernelI17hipblaslt_f8_fnuzZ21hipblaslt_init_deviceIS0_Ev8ABC_dims24hipblaslt_initializationbPT_mmmmmEUlmE2_EvS5_mmT0_
; %bb.0:
	s_clause 0x1
	s_load_b32 s2, s[0:1], 0x44
	s_load_b128 s[16:19], s[0:1], 0x0
	s_waitcnt lgkmcnt(0)
	s_and_b32 s2, s2, 0xffff
	s_delay_alu instid0(SALU_CYCLE_1) | instskip(SKIP_2) | instid1(VALU_DEP_1)
	v_mad_u64_u32 v[1:2], null, s15, s2, v[0:1]
	v_mov_b32_e32 v2, 0
	s_mov_b32 s2, exec_lo
	v_cmpx_gt_u64_e64 s[18:19], v[1:2]
	s_cbranch_execz .LBB47_28
; %bb.1:
	s_clause 0x1
	s_load_b64 s[2:3], s[0:1], 0x10
	s_load_b256 s[4:11], s[0:1], 0x18
	v_mov_b32_e32 v0, v2
	s_waitcnt lgkmcnt(0)
	v_add_co_u32 v6, s0, v1, s2
	s_delay_alu instid0(VALU_DEP_1) | instskip(NEXT) | instid1(VALU_DEP_1)
	v_add_co_ci_u32_e64 v7, null, 0, s3, s0
	v_or_b32_e32 v1, s9, v7
	s_delay_alu instid0(VALU_DEP_1) | instskip(SKIP_1) | instid1(SALU_CYCLE_1)
	v_cmp_ne_u64_e32 vcc_lo, 0, v[0:1]
                                        ; implicit-def: $vgpr0_vgpr1
	s_and_saveexec_b32 s0, vcc_lo
	s_xor_b32 s1, exec_lo, s0
	s_cbranch_execz .LBB47_3
; %bb.2:
	v_cvt_f32_u32_e32 v0, s8
	v_cvt_f32_u32_e32 v1, s9
	s_sub_u32 s0, 0, s8
	s_subb_u32 s2, 0, s9
	s_delay_alu instid0(VALU_DEP_1) | instskip(NEXT) | instid1(VALU_DEP_1)
	v_fmamk_f32 v0, v1, 0x4f800000, v0
	v_rcp_f32_e32 v0, v0
	s_waitcnt_depctr 0xfff
	v_mul_f32_e32 v0, 0x5f7ffffc, v0
	s_delay_alu instid0(VALU_DEP_1) | instskip(NEXT) | instid1(VALU_DEP_1)
	v_mul_f32_e32 v1, 0x2f800000, v0
	v_trunc_f32_e32 v1, v1
	s_delay_alu instid0(VALU_DEP_1) | instskip(SKIP_1) | instid1(VALU_DEP_2)
	v_fmamk_f32 v0, v1, 0xcf800000, v0
	v_cvt_u32_f32_e32 v1, v1
	v_cvt_u32_f32_e32 v0, v0
	s_delay_alu instid0(VALU_DEP_2) | instskip(NEXT) | instid1(VALU_DEP_2)
	v_mul_lo_u32 v2, s0, v1
	v_mul_hi_u32 v3, s0, v0
	v_mul_lo_u32 v4, s2, v0
	s_delay_alu instid0(VALU_DEP_2) | instskip(SKIP_1) | instid1(VALU_DEP_2)
	v_add_nc_u32_e32 v2, v3, v2
	v_mul_lo_u32 v3, s0, v0
	v_add_nc_u32_e32 v2, v2, v4
	s_delay_alu instid0(VALU_DEP_2) | instskip(NEXT) | instid1(VALU_DEP_2)
	v_mul_hi_u32 v4, v0, v3
	v_mul_lo_u32 v5, v0, v2
	v_mul_hi_u32 v8, v0, v2
	v_mul_hi_u32 v9, v1, v3
	v_mul_lo_u32 v3, v1, v3
	v_mul_hi_u32 v10, v1, v2
	v_mul_lo_u32 v2, v1, v2
	v_add_co_u32 v4, vcc_lo, v4, v5
	v_add_co_ci_u32_e32 v5, vcc_lo, 0, v8, vcc_lo
	s_delay_alu instid0(VALU_DEP_2) | instskip(NEXT) | instid1(VALU_DEP_2)
	v_add_co_u32 v3, vcc_lo, v4, v3
	v_add_co_ci_u32_e32 v3, vcc_lo, v5, v9, vcc_lo
	v_add_co_ci_u32_e32 v4, vcc_lo, 0, v10, vcc_lo
	s_delay_alu instid0(VALU_DEP_2) | instskip(NEXT) | instid1(VALU_DEP_2)
	v_add_co_u32 v2, vcc_lo, v3, v2
	v_add_co_ci_u32_e32 v3, vcc_lo, 0, v4, vcc_lo
	s_delay_alu instid0(VALU_DEP_2) | instskip(NEXT) | instid1(VALU_DEP_2)
	v_add_co_u32 v0, vcc_lo, v0, v2
	v_add_co_ci_u32_e32 v1, vcc_lo, v1, v3, vcc_lo
	s_delay_alu instid0(VALU_DEP_2) | instskip(SKIP_1) | instid1(VALU_DEP_3)
	v_mul_hi_u32 v2, s0, v0
	v_mul_lo_u32 v4, s2, v0
	v_mul_lo_u32 v3, s0, v1
	s_delay_alu instid0(VALU_DEP_1) | instskip(SKIP_1) | instid1(VALU_DEP_2)
	v_add_nc_u32_e32 v2, v2, v3
	v_mul_lo_u32 v3, s0, v0
	v_add_nc_u32_e32 v2, v2, v4
	s_delay_alu instid0(VALU_DEP_2) | instskip(NEXT) | instid1(VALU_DEP_2)
	v_mul_hi_u32 v4, v0, v3
	v_mul_lo_u32 v5, v0, v2
	v_mul_hi_u32 v8, v0, v2
	v_mul_hi_u32 v9, v1, v3
	v_mul_lo_u32 v3, v1, v3
	v_mul_hi_u32 v10, v1, v2
	v_mul_lo_u32 v2, v1, v2
	v_add_co_u32 v4, vcc_lo, v4, v5
	v_add_co_ci_u32_e32 v5, vcc_lo, 0, v8, vcc_lo
	s_delay_alu instid0(VALU_DEP_2) | instskip(NEXT) | instid1(VALU_DEP_2)
	v_add_co_u32 v3, vcc_lo, v4, v3
	v_add_co_ci_u32_e32 v3, vcc_lo, v5, v9, vcc_lo
	v_add_co_ci_u32_e32 v4, vcc_lo, 0, v10, vcc_lo
	s_delay_alu instid0(VALU_DEP_2) | instskip(NEXT) | instid1(VALU_DEP_2)
	v_add_co_u32 v2, vcc_lo, v3, v2
	v_add_co_ci_u32_e32 v3, vcc_lo, 0, v4, vcc_lo
	s_delay_alu instid0(VALU_DEP_2) | instskip(NEXT) | instid1(VALU_DEP_2)
	v_add_co_u32 v4, vcc_lo, v0, v2
	v_add_co_ci_u32_e32 v8, vcc_lo, v1, v3, vcc_lo
	s_delay_alu instid0(VALU_DEP_2) | instskip(SKIP_1) | instid1(VALU_DEP_3)
	v_mul_hi_u32 v9, v6, v4
	v_mad_u64_u32 v[2:3], null, v7, v4, 0
	v_mad_u64_u32 v[0:1], null, v6, v8, 0
	;; [unrolled: 1-line block ×3, first 2 shown]
	s_delay_alu instid0(VALU_DEP_2) | instskip(NEXT) | instid1(VALU_DEP_3)
	v_add_co_u32 v0, vcc_lo, v9, v0
	v_add_co_ci_u32_e32 v1, vcc_lo, 0, v1, vcc_lo
	s_delay_alu instid0(VALU_DEP_2) | instskip(NEXT) | instid1(VALU_DEP_2)
	v_add_co_u32 v0, vcc_lo, v0, v2
	v_add_co_ci_u32_e32 v0, vcc_lo, v1, v3, vcc_lo
	v_add_co_ci_u32_e32 v1, vcc_lo, 0, v5, vcc_lo
	s_delay_alu instid0(VALU_DEP_2) | instskip(NEXT) | instid1(VALU_DEP_2)
	v_add_co_u32 v2, vcc_lo, v0, v4
	v_add_co_ci_u32_e32 v3, vcc_lo, 0, v1, vcc_lo
	s_delay_alu instid0(VALU_DEP_2) | instskip(SKIP_1) | instid1(VALU_DEP_3)
	v_mul_lo_u32 v4, s9, v2
	v_mad_u64_u32 v[0:1], null, s8, v2, 0
	v_mul_lo_u32 v5, s8, v3
	s_delay_alu instid0(VALU_DEP_2) | instskip(NEXT) | instid1(VALU_DEP_2)
	v_sub_co_u32 v0, vcc_lo, v6, v0
	v_add3_u32 v1, v1, v5, v4
	s_delay_alu instid0(VALU_DEP_1) | instskip(NEXT) | instid1(VALU_DEP_1)
	v_sub_nc_u32_e32 v4, v7, v1
	v_subrev_co_ci_u32_e64 v4, s0, s9, v4, vcc_lo
	v_add_co_u32 v5, s0, v2, 2
	s_delay_alu instid0(VALU_DEP_1) | instskip(SKIP_3) | instid1(VALU_DEP_3)
	v_add_co_ci_u32_e64 v8, s0, 0, v3, s0
	v_sub_co_u32 v9, s0, v0, s8
	v_sub_co_ci_u32_e32 v1, vcc_lo, v7, v1, vcc_lo
	v_subrev_co_ci_u32_e64 v4, s0, 0, v4, s0
	v_cmp_le_u32_e32 vcc_lo, s8, v9
	s_delay_alu instid0(VALU_DEP_3) | instskip(SKIP_1) | instid1(VALU_DEP_4)
	v_cmp_eq_u32_e64 s0, s9, v1
	v_cndmask_b32_e64 v9, 0, -1, vcc_lo
	v_cmp_le_u32_e32 vcc_lo, s9, v4
	v_cndmask_b32_e64 v10, 0, -1, vcc_lo
	v_cmp_le_u32_e32 vcc_lo, s8, v0
	;; [unrolled: 2-line block ×3, first 2 shown]
	v_cndmask_b32_e64 v11, 0, -1, vcc_lo
	v_cmp_eq_u32_e32 vcc_lo, s9, v4
	s_delay_alu instid0(VALU_DEP_2) | instskip(SKIP_3) | instid1(VALU_DEP_3)
	v_cndmask_b32_e64 v0, v11, v0, s0
	v_cndmask_b32_e32 v4, v10, v9, vcc_lo
	v_add_co_u32 v9, vcc_lo, v2, 1
	v_add_co_ci_u32_e32 v10, vcc_lo, 0, v3, vcc_lo
	v_cmp_ne_u32_e32 vcc_lo, 0, v4
	s_delay_alu instid0(VALU_DEP_2) | instskip(SKIP_1) | instid1(VALU_DEP_2)
	v_dual_cndmask_b32 v1, v10, v8 :: v_dual_cndmask_b32 v4, v9, v5
	v_cmp_ne_u32_e32 vcc_lo, 0, v0
	v_dual_cndmask_b32 v1, v3, v1 :: v_dual_cndmask_b32 v0, v2, v4
.LBB47_3:
	s_and_not1_saveexec_b32 s0, s1
	s_cbranch_execz .LBB47_5
; %bb.4:
	v_cvt_f32_u32_e32 v0, s8
	s_sub_i32 s1, 0, s8
	s_delay_alu instid0(VALU_DEP_1) | instskip(SKIP_2) | instid1(VALU_DEP_1)
	v_rcp_iflag_f32_e32 v0, v0
	s_waitcnt_depctr 0xfff
	v_mul_f32_e32 v0, 0x4f7ffffe, v0
	v_cvt_u32_f32_e32 v0, v0
	s_delay_alu instid0(VALU_DEP_1) | instskip(NEXT) | instid1(VALU_DEP_1)
	v_mul_lo_u32 v1, s1, v0
	v_mul_hi_u32 v1, v0, v1
	s_delay_alu instid0(VALU_DEP_1) | instskip(NEXT) | instid1(VALU_DEP_1)
	v_add_nc_u32_e32 v0, v0, v1
	v_mul_hi_u32 v0, v6, v0
	s_delay_alu instid0(VALU_DEP_1) | instskip(SKIP_1) | instid1(VALU_DEP_2)
	v_mul_lo_u32 v1, v0, s8
	v_add_nc_u32_e32 v2, 1, v0
	v_sub_nc_u32_e32 v1, v6, v1
	s_delay_alu instid0(VALU_DEP_1) | instskip(SKIP_1) | instid1(VALU_DEP_2)
	v_subrev_nc_u32_e32 v3, s8, v1
	v_cmp_le_u32_e32 vcc_lo, s8, v1
	v_dual_cndmask_b32 v1, v1, v3 :: v_dual_cndmask_b32 v0, v0, v2
	s_delay_alu instid0(VALU_DEP_1) | instskip(NEXT) | instid1(VALU_DEP_2)
	v_cmp_le_u32_e32 vcc_lo, s8, v1
	v_dual_mov_b32 v1, 0 :: v_dual_add_nc_u32 v2, 1, v0
	s_delay_alu instid0(VALU_DEP_1)
	v_cndmask_b32_e32 v0, v0, v2, vcc_lo
.LBB47_5:
	s_or_b32 exec_lo, exec_lo, s0
	s_delay_alu instid0(VALU_DEP_1) | instskip(NEXT) | instid1(VALU_DEP_2)
	v_mul_lo_u32 v4, v1, s8
	v_mul_lo_u32 v5, v0, s9
	v_mad_u64_u32 v[2:3], null, v0, s8, 0
	s_delay_alu instid0(VALU_DEP_1) | instskip(NEXT) | instid1(VALU_DEP_2)
	v_add3_u32 v3, v3, v5, v4
	v_sub_co_u32 v4, vcc_lo, v6, v2
	v_mov_b32_e32 v2, 0
	s_delay_alu instid0(VALU_DEP_3) | instskip(NEXT) | instid1(VALU_DEP_1)
	v_sub_co_ci_u32_e32 v5, vcc_lo, v7, v3, vcc_lo
	v_or_b32_e32 v3, s11, v5
	s_delay_alu instid0(VALU_DEP_1) | instskip(SKIP_1) | instid1(SALU_CYCLE_1)
	v_cmp_ne_u64_e32 vcc_lo, 0, v[2:3]
                                        ; implicit-def: $vgpr2_vgpr3
	s_and_saveexec_b32 s0, vcc_lo
	s_xor_b32 s1, exec_lo, s0
	s_cbranch_execz .LBB47_7
; %bb.6:
	v_cvt_f32_u32_e32 v2, s10
	v_cvt_f32_u32_e32 v3, s11
	s_sub_u32 s0, 0, s10
	s_subb_u32 s2, 0, s11
	s_delay_alu instid0(VALU_DEP_1) | instskip(NEXT) | instid1(VALU_DEP_1)
	v_fmamk_f32 v2, v3, 0x4f800000, v2
	v_rcp_f32_e32 v2, v2
	s_waitcnt_depctr 0xfff
	v_mul_f32_e32 v2, 0x5f7ffffc, v2
	s_delay_alu instid0(VALU_DEP_1) | instskip(NEXT) | instid1(VALU_DEP_1)
	v_mul_f32_e32 v3, 0x2f800000, v2
	v_trunc_f32_e32 v3, v3
	s_delay_alu instid0(VALU_DEP_1) | instskip(SKIP_1) | instid1(VALU_DEP_2)
	v_fmamk_f32 v2, v3, 0xcf800000, v2
	v_cvt_u32_f32_e32 v3, v3
	v_cvt_u32_f32_e32 v2, v2
	s_delay_alu instid0(VALU_DEP_2) | instskip(NEXT) | instid1(VALU_DEP_2)
	v_mul_lo_u32 v8, s0, v3
	v_mul_hi_u32 v9, s0, v2
	v_mul_lo_u32 v10, s2, v2
	s_delay_alu instid0(VALU_DEP_2) | instskip(SKIP_1) | instid1(VALU_DEP_2)
	v_add_nc_u32_e32 v8, v9, v8
	v_mul_lo_u32 v9, s0, v2
	v_add_nc_u32_e32 v8, v8, v10
	s_delay_alu instid0(VALU_DEP_2) | instskip(NEXT) | instid1(VALU_DEP_2)
	v_mul_hi_u32 v10, v2, v9
	v_mul_lo_u32 v11, v2, v8
	v_mul_hi_u32 v12, v2, v8
	v_mul_hi_u32 v13, v3, v9
	v_mul_lo_u32 v9, v3, v9
	v_mul_hi_u32 v14, v3, v8
	v_mul_lo_u32 v8, v3, v8
	v_add_co_u32 v10, vcc_lo, v10, v11
	v_add_co_ci_u32_e32 v11, vcc_lo, 0, v12, vcc_lo
	s_delay_alu instid0(VALU_DEP_2) | instskip(NEXT) | instid1(VALU_DEP_2)
	v_add_co_u32 v9, vcc_lo, v10, v9
	v_add_co_ci_u32_e32 v9, vcc_lo, v11, v13, vcc_lo
	v_add_co_ci_u32_e32 v10, vcc_lo, 0, v14, vcc_lo
	s_delay_alu instid0(VALU_DEP_2) | instskip(NEXT) | instid1(VALU_DEP_2)
	v_add_co_u32 v8, vcc_lo, v9, v8
	v_add_co_ci_u32_e32 v9, vcc_lo, 0, v10, vcc_lo
	s_delay_alu instid0(VALU_DEP_2) | instskip(NEXT) | instid1(VALU_DEP_2)
	v_add_co_u32 v2, vcc_lo, v2, v8
	v_add_co_ci_u32_e32 v3, vcc_lo, v3, v9, vcc_lo
	s_delay_alu instid0(VALU_DEP_2) | instskip(SKIP_1) | instid1(VALU_DEP_3)
	v_mul_hi_u32 v8, s0, v2
	v_mul_lo_u32 v10, s2, v2
	v_mul_lo_u32 v9, s0, v3
	s_delay_alu instid0(VALU_DEP_1) | instskip(SKIP_1) | instid1(VALU_DEP_2)
	v_add_nc_u32_e32 v8, v8, v9
	v_mul_lo_u32 v9, s0, v2
	v_add_nc_u32_e32 v8, v8, v10
	s_delay_alu instid0(VALU_DEP_2) | instskip(NEXT) | instid1(VALU_DEP_2)
	v_mul_hi_u32 v10, v2, v9
	v_mul_lo_u32 v11, v2, v8
	v_mul_hi_u32 v12, v2, v8
	v_mul_hi_u32 v13, v3, v9
	v_mul_lo_u32 v9, v3, v9
	v_mul_hi_u32 v14, v3, v8
	v_mul_lo_u32 v8, v3, v8
	v_add_co_u32 v10, vcc_lo, v10, v11
	v_add_co_ci_u32_e32 v11, vcc_lo, 0, v12, vcc_lo
	s_delay_alu instid0(VALU_DEP_2) | instskip(NEXT) | instid1(VALU_DEP_2)
	v_add_co_u32 v9, vcc_lo, v10, v9
	v_add_co_ci_u32_e32 v9, vcc_lo, v11, v13, vcc_lo
	v_add_co_ci_u32_e32 v10, vcc_lo, 0, v14, vcc_lo
	s_delay_alu instid0(VALU_DEP_2) | instskip(NEXT) | instid1(VALU_DEP_2)
	v_add_co_u32 v8, vcc_lo, v9, v8
	v_add_co_ci_u32_e32 v9, vcc_lo, 0, v10, vcc_lo
	s_delay_alu instid0(VALU_DEP_2) | instskip(NEXT) | instid1(VALU_DEP_2)
	v_add_co_u32 v10, vcc_lo, v2, v8
	v_add_co_ci_u32_e32 v12, vcc_lo, v3, v9, vcc_lo
	s_delay_alu instid0(VALU_DEP_2) | instskip(SKIP_1) | instid1(VALU_DEP_3)
	v_mul_hi_u32 v13, v4, v10
	v_mad_u64_u32 v[8:9], null, v5, v10, 0
	v_mad_u64_u32 v[2:3], null, v4, v12, 0
	;; [unrolled: 1-line block ×3, first 2 shown]
	s_delay_alu instid0(VALU_DEP_2) | instskip(NEXT) | instid1(VALU_DEP_3)
	v_add_co_u32 v2, vcc_lo, v13, v2
	v_add_co_ci_u32_e32 v3, vcc_lo, 0, v3, vcc_lo
	s_delay_alu instid0(VALU_DEP_2) | instskip(NEXT) | instid1(VALU_DEP_2)
	v_add_co_u32 v2, vcc_lo, v2, v8
	v_add_co_ci_u32_e32 v2, vcc_lo, v3, v9, vcc_lo
	v_add_co_ci_u32_e32 v3, vcc_lo, 0, v11, vcc_lo
	s_delay_alu instid0(VALU_DEP_2) | instskip(NEXT) | instid1(VALU_DEP_2)
	v_add_co_u32 v8, vcc_lo, v2, v10
	v_add_co_ci_u32_e32 v9, vcc_lo, 0, v3, vcc_lo
	s_delay_alu instid0(VALU_DEP_2) | instskip(SKIP_1) | instid1(VALU_DEP_3)
	v_mul_lo_u32 v10, s11, v8
	v_mad_u64_u32 v[2:3], null, s10, v8, 0
	v_mul_lo_u32 v11, s10, v9
	s_delay_alu instid0(VALU_DEP_2) | instskip(NEXT) | instid1(VALU_DEP_2)
	v_sub_co_u32 v2, vcc_lo, v4, v2
	v_add3_u32 v3, v3, v11, v10
	s_delay_alu instid0(VALU_DEP_1) | instskip(NEXT) | instid1(VALU_DEP_1)
	v_sub_nc_u32_e32 v10, v5, v3
	v_subrev_co_ci_u32_e64 v10, s0, s11, v10, vcc_lo
	v_add_co_u32 v11, s0, v8, 2
	s_delay_alu instid0(VALU_DEP_1) | instskip(SKIP_3) | instid1(VALU_DEP_3)
	v_add_co_ci_u32_e64 v12, s0, 0, v9, s0
	v_sub_co_u32 v13, s0, v2, s10
	v_sub_co_ci_u32_e32 v3, vcc_lo, v5, v3, vcc_lo
	v_subrev_co_ci_u32_e64 v10, s0, 0, v10, s0
	v_cmp_le_u32_e32 vcc_lo, s10, v13
	s_delay_alu instid0(VALU_DEP_3) | instskip(SKIP_1) | instid1(VALU_DEP_4)
	v_cmp_eq_u32_e64 s0, s11, v3
	v_cndmask_b32_e64 v13, 0, -1, vcc_lo
	v_cmp_le_u32_e32 vcc_lo, s11, v10
	v_cndmask_b32_e64 v14, 0, -1, vcc_lo
	v_cmp_le_u32_e32 vcc_lo, s10, v2
	;; [unrolled: 2-line block ×3, first 2 shown]
	v_cndmask_b32_e64 v15, 0, -1, vcc_lo
	v_cmp_eq_u32_e32 vcc_lo, s11, v10
	s_delay_alu instid0(VALU_DEP_2) | instskip(SKIP_3) | instid1(VALU_DEP_3)
	v_cndmask_b32_e64 v2, v15, v2, s0
	v_cndmask_b32_e32 v10, v14, v13, vcc_lo
	v_add_co_u32 v13, vcc_lo, v8, 1
	v_add_co_ci_u32_e32 v14, vcc_lo, 0, v9, vcc_lo
	v_cmp_ne_u32_e32 vcc_lo, 0, v10
	s_delay_alu instid0(VALU_DEP_2) | instskip(SKIP_1) | instid1(VALU_DEP_2)
	v_dual_cndmask_b32 v3, v14, v12 :: v_dual_cndmask_b32 v10, v13, v11
	v_cmp_ne_u32_e32 vcc_lo, 0, v2
	v_dual_cndmask_b32 v3, v9, v3 :: v_dual_cndmask_b32 v2, v8, v10
.LBB47_7:
	s_and_not1_saveexec_b32 s0, s1
	s_cbranch_execz .LBB47_9
; %bb.8:
	v_cvt_f32_u32_e32 v2, s10
	s_sub_i32 s1, 0, s10
	s_delay_alu instid0(VALU_DEP_1) | instskip(SKIP_2) | instid1(VALU_DEP_1)
	v_rcp_iflag_f32_e32 v2, v2
	s_waitcnt_depctr 0xfff
	v_mul_f32_e32 v2, 0x4f7ffffe, v2
	v_cvt_u32_f32_e32 v2, v2
	s_delay_alu instid0(VALU_DEP_1) | instskip(NEXT) | instid1(VALU_DEP_1)
	v_mul_lo_u32 v3, s1, v2
	v_mul_hi_u32 v3, v2, v3
	s_delay_alu instid0(VALU_DEP_1) | instskip(NEXT) | instid1(VALU_DEP_1)
	v_add_nc_u32_e32 v2, v2, v3
	v_mul_hi_u32 v2, v4, v2
	s_delay_alu instid0(VALU_DEP_1) | instskip(SKIP_1) | instid1(VALU_DEP_2)
	v_mul_lo_u32 v3, v2, s10
	v_add_nc_u32_e32 v8, 1, v2
	v_sub_nc_u32_e32 v3, v4, v3
	s_delay_alu instid0(VALU_DEP_1) | instskip(SKIP_1) | instid1(VALU_DEP_2)
	v_subrev_nc_u32_e32 v9, s10, v3
	v_cmp_le_u32_e32 vcc_lo, s10, v3
	v_dual_cndmask_b32 v3, v3, v9 :: v_dual_cndmask_b32 v2, v2, v8
	s_delay_alu instid0(VALU_DEP_1) | instskip(NEXT) | instid1(VALU_DEP_2)
	v_cmp_le_u32_e32 vcc_lo, s10, v3
	v_dual_mov_b32 v3, 0 :: v_dual_add_nc_u32 v8, 1, v2
	s_delay_alu instid0(VALU_DEP_1)
	v_cndmask_b32_e32 v2, v2, v8, vcc_lo
.LBB47_9:
	s_or_b32 exec_lo, exec_lo, s0
	s_delay_alu instid0(VALU_DEP_1) | instskip(NEXT) | instid1(VALU_DEP_2)
	v_mul_lo_u32 v12, v3, s10
	v_mul_lo_u32 v13, v2, s11
	v_mad_u64_u32 v[8:9], null, v2, s10, 0
	v_mad_u64_u32 v[10:11], null, v0, s6, v[2:3]
	v_mul_lo_u32 v0, v0, s7
	v_mul_lo_u32 v1, v1, s6
	s_delay_alu instid0(VALU_DEP_4) | instskip(NEXT) | instid1(VALU_DEP_2)
	v_add3_u32 v2, v9, v13, v12
	v_add3_u32 v3, v1, v11, v0
	v_sub_co_u32 v0, vcc_lo, v4, v8
	s_delay_alu instid0(VALU_DEP_3) | instskip(SKIP_1) | instid1(VALU_DEP_4)
	v_sub_co_ci_u32_e32 v1, vcc_lo, v5, v2, vcc_lo
	v_mul_lo_u32 v4, v10, s5
	v_mul_lo_u32 v5, v3, s4
                                        ; implicit-def: $vgpr8
	s_delay_alu instid0(VALU_DEP_3) | instskip(NEXT) | instid1(VALU_DEP_1)
	v_mad_u64_u32 v[2:3], null, v10, s4, v[0:1]
	v_add3_u32 v3, v5, v3, v4
	s_delay_alu instid0(VALU_DEP_2) | instskip(NEXT) | instid1(VALU_DEP_2)
	v_cvt_f64_u32_e32 v[4:5], v2
	v_cvt_f64_u32_e32 v[0:1], v3
	v_cmp_lt_u64_e32 vcc_lo, 0x3fffffff, v[2:3]
                                        ; implicit-def: $vgpr2_vgpr3
	s_delay_alu instid0(VALU_DEP_2) | instskip(NEXT) | instid1(VALU_DEP_1)
	v_ldexp_f64 v[0:1], v[0:1], 32
	v_add_f64 v[0:1], v[0:1], v[4:5]
                                        ; implicit-def: $vgpr4_vgpr5
	s_and_saveexec_b32 s0, vcc_lo
	s_delay_alu instid0(SALU_CYCLE_1)
	s_xor_b32 s1, exec_lo, s0
	s_cbranch_execz .LBB47_11
; %bb.10:
	s_delay_alu instid0(VALU_DEP_1)
	v_trig_preop_f64 v[2:3], v[0:1], 0
	v_trig_preop_f64 v[4:5], v[0:1], 1
	v_trig_preop_f64 v[16:17], v[0:1], 2
	v_mov_b32_e32 v24, 0
	s_mov_b32 s2, 0x54442d18
	s_mov_b32 s3, 0x3ff921fb
	;; [unrolled: 1-line block ×4, first 2 shown]
	s_delay_alu instid0(VALU_DEP_4) | instskip(NEXT) | instid1(VALU_DEP_4)
	v_mul_f64 v[8:9], v[2:3], v[0:1]
	v_mul_f64 v[10:11], v[4:5], v[0:1]
	s_delay_alu instid0(VALU_DEP_4) | instskip(NEXT) | instid1(VALU_DEP_3)
	v_mul_f64 v[22:23], v[16:17], v[0:1]
	v_fma_f64 v[2:3], v[2:3], v[0:1], -v[8:9]
	s_delay_alu instid0(VALU_DEP_3) | instskip(NEXT) | instid1(VALU_DEP_3)
	v_fma_f64 v[4:5], v[4:5], v[0:1], -v[10:11]
	v_fma_f64 v[16:17], v[16:17], v[0:1], -v[22:23]
	s_delay_alu instid0(VALU_DEP_3) | instskip(NEXT) | instid1(VALU_DEP_1)
	v_add_f64 v[12:13], v[10:11], v[2:3]
	v_add_f64 v[14:15], v[12:13], -v[10:11]
	v_add_f64 v[20:21], v[8:9], v[12:13]
	s_delay_alu instid0(VALU_DEP_2) | instskip(SKIP_1) | instid1(VALU_DEP_3)
	v_add_f64 v[18:19], v[12:13], -v[14:15]
	v_add_f64 v[2:3], v[2:3], -v[14:15]
	v_ldexp_f64 v[14:15], v[20:21], -2
	v_add_f64 v[8:9], v[20:21], -v[8:9]
	s_delay_alu instid0(VALU_DEP_4) | instskip(SKIP_1) | instid1(VALU_DEP_4)
	v_add_f64 v[10:11], v[10:11], -v[18:19]
	v_add_f64 v[18:19], v[22:23], v[4:5]
	v_cmp_neq_f64_e64 vcc_lo, 0x7ff00000, |v[14:15]|
	s_delay_alu instid0(VALU_DEP_4) | instskip(NEXT) | instid1(VALU_DEP_4)
	v_add_f64 v[8:9], v[12:13], -v[8:9]
	v_add_f64 v[2:3], v[2:3], v[10:11]
	v_fract_f64_e32 v[10:11], v[14:15]
	s_delay_alu instid0(VALU_DEP_2) | instskip(NEXT) | instid1(VALU_DEP_2)
	v_add_f64 v[12:13], v[18:19], v[2:3]
	v_dual_cndmask_b32 v11, 0, v11 :: v_dual_cndmask_b32 v10, 0, v10
	s_delay_alu instid0(VALU_DEP_1) | instskip(NEXT) | instid1(VALU_DEP_3)
	v_ldexp_f64 v[10:11], v[10:11], 2
	v_add_f64 v[14:15], v[8:9], v[12:13]
	s_delay_alu instid0(VALU_DEP_1) | instskip(SKIP_1) | instid1(VALU_DEP_2)
	v_add_f64 v[20:21], v[14:15], v[10:11]
	v_add_f64 v[8:9], v[14:15], -v[8:9]
	v_cmp_gt_f64_e32 vcc_lo, 0, v[20:21]
	v_add_f64 v[20:21], v[18:19], -v[22:23]
	s_delay_alu instid0(VALU_DEP_3) | instskip(SKIP_1) | instid1(VALU_DEP_3)
	v_add_f64 v[8:9], v[12:13], -v[8:9]
	v_cndmask_b32_e64 v25, 0, 0x40100000, vcc_lo
	v_add_f64 v[29:30], v[18:19], -v[20:21]
	v_add_f64 v[4:5], v[4:5], -v[20:21]
	s_delay_alu instid0(VALU_DEP_3) | instskip(SKIP_1) | instid1(VALU_DEP_4)
	v_add_f64 v[10:11], v[10:11], v[24:25]
	v_add_f64 v[25:26], v[12:13], -v[18:19]
	v_add_f64 v[20:21], v[22:23], -v[29:30]
	s_delay_alu instid0(VALU_DEP_3) | instskip(NEXT) | instid1(VALU_DEP_3)
	v_add_f64 v[27:28], v[14:15], v[10:11]
	v_add_f64 v[31:32], v[12:13], -v[25:26]
	v_add_f64 v[2:3], v[2:3], -v[25:26]
	s_delay_alu instid0(VALU_DEP_4) | instskip(NEXT) | instid1(VALU_DEP_4)
	v_add_f64 v[4:5], v[4:5], v[20:21]
	v_cvt_i32_f64_e32 v27, v[27:28]
	s_delay_alu instid0(VALU_DEP_4) | instskip(NEXT) | instid1(VALU_DEP_2)
	v_add_f64 v[18:19], v[18:19], -v[31:32]
	v_cvt_f64_i32_e32 v[25:26], v27
	s_delay_alu instid0(VALU_DEP_2) | instskip(NEXT) | instid1(VALU_DEP_2)
	v_add_f64 v[2:3], v[2:3], v[18:19]
	v_add_f64 v[10:11], v[10:11], -v[25:26]
	s_delay_alu instid0(VALU_DEP_2) | instskip(NEXT) | instid1(VALU_DEP_2)
	v_add_f64 v[2:3], v[4:5], v[2:3]
	v_add_f64 v[4:5], v[14:15], v[10:11]
	s_delay_alu instid0(VALU_DEP_2) | instskip(NEXT) | instid1(VALU_DEP_2)
	v_add_f64 v[2:3], v[16:17], v[2:3]
	v_add_f64 v[10:11], v[4:5], -v[10:11]
	v_cmp_le_f64_e32 vcc_lo, 0.5, v[4:5]
	s_delay_alu instid0(VALU_DEP_3) | instskip(NEXT) | instid1(VALU_DEP_3)
	v_add_f64 v[2:3], v[8:9], v[2:3]
	v_add_f64 v[9:10], v[14:15], -v[10:11]
	v_cndmask_b32_e64 v25, 0, 0x3ff00000, vcc_lo
	v_add_co_ci_u32_e64 v8, s0, 0, v27, vcc_lo
	s_delay_alu instid0(VALU_DEP_2) | instskip(NEXT) | instid1(VALU_DEP_4)
	v_add_f64 v[4:5], v[4:5], -v[24:25]
	v_add_f64 v[2:3], v[2:3], v[9:10]
	s_delay_alu instid0(VALU_DEP_1) | instskip(NEXT) | instid1(VALU_DEP_1)
	v_add_f64 v[9:10], v[4:5], v[2:3]
	v_mul_f64 v[11:12], v[9:10], s[2:3]
	v_add_f64 v[4:5], v[9:10], -v[4:5]
	s_delay_alu instid0(VALU_DEP_2) | instskip(NEXT) | instid1(VALU_DEP_2)
	v_fma_f64 v[13:14], v[9:10], s[2:3], -v[11:12]
	v_add_f64 v[2:3], v[2:3], -v[4:5]
	s_delay_alu instid0(VALU_DEP_2) | instskip(NEXT) | instid1(VALU_DEP_1)
	v_fma_f64 v[4:5], v[9:10], s[4:5], v[13:14]
	v_fma_f64 v[4:5], v[2:3], s[2:3], v[4:5]
	s_delay_alu instid0(VALU_DEP_1) | instskip(NEXT) | instid1(VALU_DEP_1)
	v_add_f64 v[2:3], v[11:12], v[4:5]
	v_add_f64 v[9:10], v[2:3], -v[11:12]
	s_delay_alu instid0(VALU_DEP_1)
	v_add_f64 v[4:5], v[4:5], -v[9:10]
.LBB47_11:
	s_and_not1_saveexec_b32 s0, s1
	s_cbranch_execz .LBB47_13
; %bb.12:
	s_mov_b32 s2, 0x6dc9c883
	s_mov_b32 s3, 0x3fe45f30
	;; [unrolled: 1-line block ×3, first 2 shown]
	s_delay_alu instid0(VALU_DEP_1) | instskip(SKIP_3) | instid1(VALU_DEP_1)
	v_mul_f64 v[2:3], v[0:1], s[2:3]
	s_mov_b32 s2, 0x54442d18
	s_mov_b32 s3, 0xbff921fb
	;; [unrolled: 1-line block ×3, first 2 shown]
	v_rndne_f64_e32 v[8:9], v[2:3]
	s_delay_alu instid0(VALU_DEP_1) | instskip(SKIP_3) | instid1(VALU_DEP_2)
	v_fma_f64 v[2:3], v[8:9], s[2:3], v[0:1]
	v_mul_f64 v[4:5], v[8:9], s[4:5]
	s_mov_b32 s2, 0x252049c0
	s_mov_b32 s3, 0xb97b839a
	v_fma_f64 v[12:13], v[8:9], s[4:5], v[2:3]
	s_delay_alu instid0(VALU_DEP_2) | instskip(SKIP_1) | instid1(VALU_DEP_1)
	v_add_f64 v[10:11], v[2:3], v[4:5]
	s_mov_b32 s5, 0x3c91a626
	v_add_f64 v[2:3], v[2:3], -v[10:11]
	s_delay_alu instid0(VALU_DEP_3) | instskip(NEXT) | instid1(VALU_DEP_2)
	v_add_f64 v[10:11], v[10:11], -v[12:13]
	v_add_f64 v[2:3], v[2:3], v[4:5]
	v_fma_f64 v[4:5], v[8:9], s[4:5], v[4:5]
	s_delay_alu instid0(VALU_DEP_2) | instskip(NEXT) | instid1(VALU_DEP_1)
	v_add_f64 v[2:3], v[10:11], v[2:3]
	v_add_f64 v[2:3], v[2:3], -v[4:5]
	s_delay_alu instid0(VALU_DEP_1) | instskip(SKIP_1) | instid1(VALU_DEP_2)
	v_fma_f64 v[4:5], v[8:9], s[2:3], v[2:3]
	v_cvt_i32_f64_e32 v8, v[8:9]
	v_add_f64 v[2:3], v[12:13], v[4:5]
	s_delay_alu instid0(VALU_DEP_1) | instskip(NEXT) | instid1(VALU_DEP_1)
	v_add_f64 v[10:11], v[2:3], -v[12:13]
	v_add_f64 v[4:5], v[4:5], -v[10:11]
.LBB47_13:
	s_or_b32 exec_lo, exec_lo, s0
	v_mul_f64 v[9:10], v[2:3], v[2:3]
	s_mov_b32 s0, 0xb42fdfa7
	s_mov_b32 s2, 0xf9a43bb8
	;; [unrolled: 1-line block ×6, first 2 shown]
	s_delay_alu instid0(VALU_DEP_2) | instskip(SKIP_1) | instid1(VALU_DEP_1)
	v_mul_f64 v[19:20], v[4:5], 0.5
	v_lshlrev_b32_e32 v0, 30, v8
	v_xor_b32_e32 v0, v0, v1
	s_delay_alu instid0(VALU_DEP_4)
	v_fma_f64 v[11:12], v[9:10], s[2:3], s[0:1]
	s_mov_b32 s0, 0x9037ab78
	s_mov_b32 s2, 0x46cc5e42
	;; [unrolled: 1-line block ×4, first 2 shown]
	v_mul_f64 v[15:16], v[9:10], 0.5
	v_fma_f64 v[13:14], v[9:10], s[2:3], s[0:1]
	s_mov_b32 s0, 0xa17f65f6
	s_mov_b32 s2, 0x19e83e5c
	;; [unrolled: 1-line block ×4, first 2 shown]
	v_mul_f64 v[21:22], v[2:3], -v[9:10]
	s_delay_alu instid0(VALU_DEP_4) | instskip(NEXT) | instid1(VALU_DEP_4)
	v_fma_f64 v[11:12], v[9:10], v[11:12], s[4:5]
	v_add_f64 v[17:18], -v[15:16], 1.0
	s_delay_alu instid0(VALU_DEP_4) | instskip(SKIP_2) | instid1(VALU_DEP_3)
	v_fma_f64 v[13:14], v[9:10], v[13:14], s[0:1]
	s_mov_b32 s0, 0x19f4ec90
	s_mov_b32 s1, 0x3efa01a0
	v_fma_f64 v[11:12], v[9:10], v[11:12], s[2:3]
	s_mov_b32 s2, 0x11110bb3
	s_mov_b32 s3, 0x3f811111
	s_delay_alu instid0(VALU_DEP_3) | instskip(NEXT) | instid1(VALU_DEP_3)
	v_add_f64 v[23:24], -v[17:18], 1.0
	v_fma_f64 v[13:14], v[9:10], v[13:14], s[0:1]
	s_mov_b32 s0, 0x16c16967
	s_mov_b32 s1, 0xbf56c16c
	s_delay_alu instid0(VALU_DEP_3) | instskip(NEXT) | instid1(VALU_DEP_3)
	v_fma_f64 v[11:12], v[9:10], v[11:12], s[2:3]
	v_add_f64 v[15:16], v[23:24], -v[15:16]
	s_delay_alu instid0(VALU_DEP_3) | instskip(SKIP_2) | instid1(VALU_DEP_3)
	v_fma_f64 v[13:14], v[9:10], v[13:14], s[0:1]
	s_mov_b32 s1, 0x3fa55555
	s_mov_b32 s0, 0x55555555
	v_fma_f64 v[11:12], v[21:22], v[11:12], v[19:20]
	v_mul_f64 v[19:20], v[9:10], v[9:10]
	s_delay_alu instid0(VALU_DEP_4) | instskip(NEXT) | instid1(VALU_DEP_4)
	v_fma_f64 v[15:16], v[2:3], -v[4:5], v[15:16]
	v_fma_f64 v[13:14], v[9:10], v[13:14], s[0:1]
	s_mov_b32 s1, 0xbfc55555
	s_delay_alu instid0(VALU_DEP_4) | instskip(NEXT) | instid1(VALU_DEP_2)
	v_fma_f64 v[4:5], v[9:10], v[11:12], -v[4:5]
	v_fma_f64 v[9:10], v[19:20], v[13:14], v[15:16]
	s_delay_alu instid0(VALU_DEP_2) | instskip(SKIP_2) | instid1(VALU_DEP_2)
	v_fma_f64 v[4:5], v[21:22], s[0:1], v[4:5]
	s_mov_b32 s0, 0
	s_mov_b32 s1, 0x7ff00000
	v_add_f64 v[9:10], v[17:18], v[9:10]
	s_delay_alu instid0(VALU_DEP_2) | instskip(SKIP_1) | instid1(VALU_DEP_1)
	v_add_f64 v[2:3], v[2:3], -v[4:5]
	v_and_b32_e32 v4, 1, v8
	v_cmp_eq_u32_e32 vcc_lo, 0, v4
	s_delay_alu instid0(VALU_DEP_3) | instskip(NEXT) | instid1(VALU_DEP_4)
	v_dual_cndmask_b32 v0, v9, v2 :: v_dual_and_b32 v1, 0x80000000, v0
	v_cndmask_b32_e32 v2, v10, v3, vcc_lo
	s_delay_alu instid0(VALU_DEP_1) | instskip(NEXT) | instid1(VALU_DEP_1)
	v_xor_b32_e32 v1, v2, v1
	v_dual_mov_b32 v2, 0 :: v_dual_and_b32 v3, 0x7ff00000, v1
	s_delay_alu instid0(VALU_DEP_1) | instskip(SKIP_2) | instid1(SALU_CYCLE_1)
	v_cmp_ne_u64_e32 vcc_lo, s[0:1], v[2:3]
	s_mov_b32 s0, 1
                                        ; implicit-def: $vgpr2
	s_and_saveexec_b32 s1, vcc_lo
	s_xor_b32 s2, exec_lo, s1
	s_cbranch_execz .LBB47_25
; %bb.14:
	v_dual_mov_b32 v2, v0 :: v_dual_and_b32 v3, 0x7fffffff, v1
	s_mov_b32 s1, 0x406e0000
	s_delay_alu instid0(VALU_DEP_1) | instid1(SALU_CYCLE_1)
	v_cmp_gt_u64_e32 vcc_lo, s[0:1], v[2:3]
                                        ; implicit-def: $vgpr2
	s_and_saveexec_b32 s0, vcc_lo
	s_delay_alu instid0(SALU_CYCLE_1)
	s_xor_b32 s3, exec_lo, s0
	s_cbranch_execz .LBB47_22
; %bb.15:
	v_mov_b32_e32 v2, 0
	s_mov_b32 s4, exec_lo
	v_cmpx_ne_u64_e32 0, v[0:1]
	s_cbranch_execz .LBB47_21
; %bb.16:
	v_bfe_u32 v12, v1, 20, 11
	v_and_b32_e32 v3, 0xfffff, v1
	s_delay_alu instid0(VALU_DEP_2) | instskip(SKIP_1) | instid1(VALU_DEP_2)
	v_sub_nc_u32_e64 v2, 0x3f8, v12 clamp
	v_cmp_eq_u32_e32 vcc_lo, 0, v12
	v_cndmask_b32_e64 v13, v2, 0x3f7, vcc_lo
	v_mov_b32_e32 v2, v0
	v_or_b32_e32 v4, 0x100000, v3
	s_delay_alu instid0(VALU_DEP_3) | instskip(NEXT) | instid1(VALU_DEP_2)
	v_add_nc_u32_e32 v5, 49, v13
	v_dual_cndmask_b32 v3, v4, v3 :: v_dual_add_nc_u32 v0, 48, v13
	s_delay_alu instid0(VALU_DEP_2) | instskip(NEXT) | instid1(VALU_DEP_2)
	v_lshlrev_b64 v[4:5], v5, -1
	v_lshlrev_b64 v[8:9], v0, 1
	s_delay_alu instid0(VALU_DEP_3) | instskip(SKIP_1) | instid1(VALU_DEP_4)
	v_lshrrev_b64 v[10:11], v13, v[2:3]
	v_add_nc_u32_e32 v0, 0xfffffc09, v12
	v_not_b32_e32 v14, v5
	v_not_b32_e32 v15, v4
	s_delay_alu instid0(VALU_DEP_4) | instskip(NEXT) | instid1(VALU_DEP_4)
	v_dual_mov_b32 v4, 0 :: v_dual_and_b32 v5, 0x20000, v11
	v_cndmask_b32_e64 v0, v0, 0xfffffc0a, vcc_lo
	s_delay_alu instid0(VALU_DEP_4) | instskip(NEXT) | instid1(VALU_DEP_4)
	v_and_b32_e32 v3, v3, v14
	v_and_b32_e32 v2, v2, v15
	s_delay_alu instid0(VALU_DEP_4) | instskip(NEXT) | instid1(VALU_DEP_2)
	v_cmp_eq_u64_e64 s0, 0, v[4:5]
	v_cmp_eq_u64_e64 s1, v[2:3], v[8:9]
	v_lshrrev_b32_e32 v3, 20, v11
	s_delay_alu instid0(VALU_DEP_1) | instskip(NEXT) | instid1(VALU_DEP_3)
	v_add3_u32 v8, v0, v13, v3
	s_and_b32 s0, s0, s1
	s_delay_alu instid0(SALU_CYCLE_1) | instskip(SKIP_1) | instid1(VALU_DEP_2)
	v_cndmask_b32_e64 v2, 0, 1, s0
	s_mov_b32 s0, exec_lo
	v_add_nc_u32_e32 v9, -1, v8
	s_delay_alu instid0(VALU_DEP_2) | instskip(SKIP_1) | instid1(VALU_DEP_2)
	v_sub_co_u32 v2, vcc_lo, v10, v2
	v_subrev_co_ci_u32_e32 v5, vcc_lo, 0, v11, vcc_lo
	v_add_co_u32 v2, vcc_lo, v2, v10
	s_delay_alu instid0(VALU_DEP_2) | instskip(NEXT) | instid1(VALU_DEP_1)
	v_and_b32_e32 v0, 0x1ffff, v5
	v_add_co_ci_u32_e32 v3, vcc_lo, v0, v11, vcc_lo
                                        ; implicit-def: $vgpr0
	v_cmpx_ne_u32_e32 0, v9
	s_xor_b32 s0, exec_lo, s0
; %bb.17:
	s_delay_alu instid0(VALU_DEP_2) | instskip(SKIP_1) | instid1(VALU_DEP_2)
	v_and_b32_e32 v5, 0x200000, v3
	v_bfe_u32 v0, v3, 21, 1
	v_cmp_eq_u64_e32 vcc_lo, 0, v[4:5]
	s_delay_alu instid0(VALU_DEP_2)
	v_lshrrev_b64 v[2:3], v0, v[2:3]
	v_cndmask_b32_e32 v0, v8, v9, vcc_lo
; %bb.18:
	s_and_not1_saveexec_b32 s0, s0
; %bb.19:
	s_delay_alu instid0(VALU_DEP_2)
	v_bfe_u32 v0, v3, 20, 1
; %bb.20:
	s_or_b32 exec_lo, exec_lo, s0
	v_lshrrev_b32_e32 v1, 24, v1
	v_lshrrev_b32_e32 v2, 17, v3
	s_delay_alu instid0(VALU_DEP_3) | instskip(SKIP_4) | instid1(VALU_DEP_2)
	v_cmp_gt_i32_e32 vcc_lo, 16, v0
	v_min_i32_e32 v4, 15, v0
	v_cmp_eq_u32_e64 s0, 0, v0
	v_and_b32_e32 v3, 0x80, v1
	v_dual_cndmask_b32 v1, 7, v2 :: v_dual_mov_b32 v2, 0
	v_lshl_or_b32 v3, v4, 3, v3
	s_delay_alu instid0(VALU_DEP_2) | instskip(NEXT) | instid1(VALU_DEP_2)
	v_cmp_eq_u64_e32 vcc_lo, 0, v[1:2]
	v_and_or_b32 v0, v1, 7, v3
	s_and_b32 s0, s0, vcc_lo
	s_delay_alu instid0(VALU_DEP_1) | instid1(SALU_CYCLE_1)
	v_cndmask_b32_e64 v2, v0, 0, s0
.LBB47_21:
	s_or_b32 exec_lo, exec_lo, s4
                                        ; implicit-def: $vgpr0_vgpr1
.LBB47_22:
	s_and_not1_saveexec_b32 s0, s3
; %bb.23:
	v_lshrrev_b32_e32 v0, 24, v1
	s_delay_alu instid0(VALU_DEP_1)
	v_or_b32_e32 v2, 0x7f, v0
; %bb.24:
	s_or_b32 exec_lo, exec_lo, s0
                                        ; implicit-def: $vgpr0_vgpr1
.LBB47_25:
	s_and_not1_saveexec_b32 s0, s2
; %bb.26:
	v_lshrrev_b32_e32 v2, 24, v1
; %bb.27:
	s_or_b32 exec_lo, exec_lo, s0
	v_add_co_u32 v0, vcc_lo, s16, v6
	v_add_co_ci_u32_e32 v1, vcc_lo, s17, v7, vcc_lo
	global_store_b8 v[0:1], v2, off
.LBB47_28:
	s_nop 0
	s_sendmsg sendmsg(MSG_DEALLOC_VGPRS)
	s_endpgm
	.section	.rodata,"a",@progbits
	.p2align	6, 0x0
	.amdhsa_kernel _Z11fill_kernelI17hipblaslt_f8_fnuzZ21hipblaslt_init_deviceIS0_Ev8ABC_dims24hipblaslt_initializationbPT_mmmmmEUlmE2_EvS5_mmT0_
		.amdhsa_group_segment_fixed_size 0
		.amdhsa_private_segment_fixed_size 0
		.amdhsa_kernarg_size 312
		.amdhsa_user_sgpr_count 15
		.amdhsa_user_sgpr_dispatch_ptr 0
		.amdhsa_user_sgpr_queue_ptr 0
		.amdhsa_user_sgpr_kernarg_segment_ptr 1
		.amdhsa_user_sgpr_dispatch_id 0
		.amdhsa_user_sgpr_private_segment_size 0
		.amdhsa_wavefront_size32 1
		.amdhsa_uses_dynamic_stack 0
		.amdhsa_enable_private_segment 0
		.amdhsa_system_sgpr_workgroup_id_x 1
		.amdhsa_system_sgpr_workgroup_id_y 0
		.amdhsa_system_sgpr_workgroup_id_z 0
		.amdhsa_system_sgpr_workgroup_info 0
		.amdhsa_system_vgpr_workitem_id 0
		.amdhsa_next_free_vgpr 33
		.amdhsa_next_free_sgpr 20
		.amdhsa_reserve_vcc 1
		.amdhsa_float_round_mode_32 0
		.amdhsa_float_round_mode_16_64 0
		.amdhsa_float_denorm_mode_32 3
		.amdhsa_float_denorm_mode_16_64 3
		.amdhsa_dx10_clamp 1
		.amdhsa_ieee_mode 1
		.amdhsa_fp16_overflow 0
		.amdhsa_workgroup_processor_mode 1
		.amdhsa_memory_ordered 1
		.amdhsa_forward_progress 0
		.amdhsa_shared_vgpr_count 0
		.amdhsa_exception_fp_ieee_invalid_op 0
		.amdhsa_exception_fp_denorm_src 0
		.amdhsa_exception_fp_ieee_div_zero 0
		.amdhsa_exception_fp_ieee_overflow 0
		.amdhsa_exception_fp_ieee_underflow 0
		.amdhsa_exception_fp_ieee_inexact 0
		.amdhsa_exception_int_div_zero 0
	.end_amdhsa_kernel
	.section	.text._Z11fill_kernelI17hipblaslt_f8_fnuzZ21hipblaslt_init_deviceIS0_Ev8ABC_dims24hipblaslt_initializationbPT_mmmmmEUlmE2_EvS5_mmT0_,"axG",@progbits,_Z11fill_kernelI17hipblaslt_f8_fnuzZ21hipblaslt_init_deviceIS0_Ev8ABC_dims24hipblaslt_initializationbPT_mmmmmEUlmE2_EvS5_mmT0_,comdat
.Lfunc_end47:
	.size	_Z11fill_kernelI17hipblaslt_f8_fnuzZ21hipblaslt_init_deviceIS0_Ev8ABC_dims24hipblaslt_initializationbPT_mmmmmEUlmE2_EvS5_mmT0_, .Lfunc_end47-_Z11fill_kernelI17hipblaslt_f8_fnuzZ21hipblaslt_init_deviceIS0_Ev8ABC_dims24hipblaslt_initializationbPT_mmmmmEUlmE2_EvS5_mmT0_
                                        ; -- End function
	.section	.AMDGPU.csdata,"",@progbits
; Kernel info:
; codeLenInByte = 4128
; NumSgprs: 22
; NumVgprs: 33
; ScratchSize: 0
; MemoryBound: 0
; FloatMode: 240
; IeeeMode: 1
; LDSByteSize: 0 bytes/workgroup (compile time only)
; SGPRBlocks: 2
; VGPRBlocks: 4
; NumSGPRsForWavesPerEU: 22
; NumVGPRsForWavesPerEU: 33
; Occupancy: 16
; WaveLimiterHint : 0
; COMPUTE_PGM_RSRC2:SCRATCH_EN: 0
; COMPUTE_PGM_RSRC2:USER_SGPR: 15
; COMPUTE_PGM_RSRC2:TRAP_HANDLER: 0
; COMPUTE_PGM_RSRC2:TGID_X_EN: 1
; COMPUTE_PGM_RSRC2:TGID_Y_EN: 0
; COMPUTE_PGM_RSRC2:TGID_Z_EN: 0
; COMPUTE_PGM_RSRC2:TIDIG_COMP_CNT: 0
	.section	.text._Z11fill_kernelI17hipblaslt_f8_fnuzZ21hipblaslt_init_deviceIS0_Ev8ABC_dims24hipblaslt_initializationbPT_mmmmmEUlmE3_EvS5_mmT0_,"axG",@progbits,_Z11fill_kernelI17hipblaslt_f8_fnuzZ21hipblaslt_init_deviceIS0_Ev8ABC_dims24hipblaslt_initializationbPT_mmmmmEUlmE3_EvS5_mmT0_,comdat
	.protected	_Z11fill_kernelI17hipblaslt_f8_fnuzZ21hipblaslt_init_deviceIS0_Ev8ABC_dims24hipblaslt_initializationbPT_mmmmmEUlmE3_EvS5_mmT0_ ; -- Begin function _Z11fill_kernelI17hipblaslt_f8_fnuzZ21hipblaslt_init_deviceIS0_Ev8ABC_dims24hipblaslt_initializationbPT_mmmmmEUlmE3_EvS5_mmT0_
	.globl	_Z11fill_kernelI17hipblaslt_f8_fnuzZ21hipblaslt_init_deviceIS0_Ev8ABC_dims24hipblaslt_initializationbPT_mmmmmEUlmE3_EvS5_mmT0_
	.p2align	8
	.type	_Z11fill_kernelI17hipblaslt_f8_fnuzZ21hipblaslt_init_deviceIS0_Ev8ABC_dims24hipblaslt_initializationbPT_mmmmmEUlmE3_EvS5_mmT0_,@function
_Z11fill_kernelI17hipblaslt_f8_fnuzZ21hipblaslt_init_deviceIS0_Ev8ABC_dims24hipblaslt_initializationbPT_mmmmmEUlmE3_EvS5_mmT0_: ; @_Z11fill_kernelI17hipblaslt_f8_fnuzZ21hipblaslt_init_deviceIS0_Ev8ABC_dims24hipblaslt_initializationbPT_mmmmmEUlmE3_EvS5_mmT0_
; %bb.0:
	s_clause 0x1
	s_load_b32 s2, s[0:1], 0x44
	s_load_b128 s[16:19], s[0:1], 0x0
	s_waitcnt lgkmcnt(0)
	s_and_b32 s2, s2, 0xffff
	s_delay_alu instid0(SALU_CYCLE_1) | instskip(SKIP_2) | instid1(VALU_DEP_1)
	v_mad_u64_u32 v[1:2], null, s15, s2, v[0:1]
	v_mov_b32_e32 v2, 0
	s_mov_b32 s2, exec_lo
	v_cmpx_gt_u64_e64 s[18:19], v[1:2]
	s_cbranch_execz .LBB48_28
; %bb.1:
	s_clause 0x1
	s_load_b64 s[2:3], s[0:1], 0x10
	s_load_b256 s[4:11], s[0:1], 0x18
	v_mov_b32_e32 v0, v2
	s_waitcnt lgkmcnt(0)
	v_add_co_u32 v6, s0, v1, s2
	s_delay_alu instid0(VALU_DEP_1) | instskip(NEXT) | instid1(VALU_DEP_1)
	v_add_co_ci_u32_e64 v7, null, 0, s3, s0
	v_or_b32_e32 v1, s9, v7
	s_delay_alu instid0(VALU_DEP_1) | instskip(SKIP_1) | instid1(SALU_CYCLE_1)
	v_cmp_ne_u64_e32 vcc_lo, 0, v[0:1]
                                        ; implicit-def: $vgpr0_vgpr1
	s_and_saveexec_b32 s0, vcc_lo
	s_xor_b32 s1, exec_lo, s0
	s_cbranch_execz .LBB48_3
; %bb.2:
	v_cvt_f32_u32_e32 v0, s8
	v_cvt_f32_u32_e32 v1, s9
	s_sub_u32 s0, 0, s8
	s_subb_u32 s2, 0, s9
	s_delay_alu instid0(VALU_DEP_1) | instskip(NEXT) | instid1(VALU_DEP_1)
	v_fmamk_f32 v0, v1, 0x4f800000, v0
	v_rcp_f32_e32 v0, v0
	s_waitcnt_depctr 0xfff
	v_mul_f32_e32 v0, 0x5f7ffffc, v0
	s_delay_alu instid0(VALU_DEP_1) | instskip(NEXT) | instid1(VALU_DEP_1)
	v_mul_f32_e32 v1, 0x2f800000, v0
	v_trunc_f32_e32 v1, v1
	s_delay_alu instid0(VALU_DEP_1) | instskip(SKIP_1) | instid1(VALU_DEP_2)
	v_fmamk_f32 v0, v1, 0xcf800000, v0
	v_cvt_u32_f32_e32 v1, v1
	v_cvt_u32_f32_e32 v0, v0
	s_delay_alu instid0(VALU_DEP_2) | instskip(NEXT) | instid1(VALU_DEP_2)
	v_mul_lo_u32 v2, s0, v1
	v_mul_hi_u32 v3, s0, v0
	v_mul_lo_u32 v4, s2, v0
	s_delay_alu instid0(VALU_DEP_2) | instskip(SKIP_1) | instid1(VALU_DEP_2)
	v_add_nc_u32_e32 v2, v3, v2
	v_mul_lo_u32 v3, s0, v0
	v_add_nc_u32_e32 v2, v2, v4
	s_delay_alu instid0(VALU_DEP_2) | instskip(NEXT) | instid1(VALU_DEP_2)
	v_mul_hi_u32 v4, v0, v3
	v_mul_lo_u32 v5, v0, v2
	v_mul_hi_u32 v8, v0, v2
	v_mul_hi_u32 v9, v1, v3
	v_mul_lo_u32 v3, v1, v3
	v_mul_hi_u32 v10, v1, v2
	v_mul_lo_u32 v2, v1, v2
	v_add_co_u32 v4, vcc_lo, v4, v5
	v_add_co_ci_u32_e32 v5, vcc_lo, 0, v8, vcc_lo
	s_delay_alu instid0(VALU_DEP_2) | instskip(NEXT) | instid1(VALU_DEP_2)
	v_add_co_u32 v3, vcc_lo, v4, v3
	v_add_co_ci_u32_e32 v3, vcc_lo, v5, v9, vcc_lo
	v_add_co_ci_u32_e32 v4, vcc_lo, 0, v10, vcc_lo
	s_delay_alu instid0(VALU_DEP_2) | instskip(NEXT) | instid1(VALU_DEP_2)
	v_add_co_u32 v2, vcc_lo, v3, v2
	v_add_co_ci_u32_e32 v3, vcc_lo, 0, v4, vcc_lo
	s_delay_alu instid0(VALU_DEP_2) | instskip(NEXT) | instid1(VALU_DEP_2)
	v_add_co_u32 v0, vcc_lo, v0, v2
	v_add_co_ci_u32_e32 v1, vcc_lo, v1, v3, vcc_lo
	s_delay_alu instid0(VALU_DEP_2) | instskip(SKIP_1) | instid1(VALU_DEP_3)
	v_mul_hi_u32 v2, s0, v0
	v_mul_lo_u32 v4, s2, v0
	v_mul_lo_u32 v3, s0, v1
	s_delay_alu instid0(VALU_DEP_1) | instskip(SKIP_1) | instid1(VALU_DEP_2)
	v_add_nc_u32_e32 v2, v2, v3
	v_mul_lo_u32 v3, s0, v0
	v_add_nc_u32_e32 v2, v2, v4
	s_delay_alu instid0(VALU_DEP_2) | instskip(NEXT) | instid1(VALU_DEP_2)
	v_mul_hi_u32 v4, v0, v3
	v_mul_lo_u32 v5, v0, v2
	v_mul_hi_u32 v8, v0, v2
	v_mul_hi_u32 v9, v1, v3
	v_mul_lo_u32 v3, v1, v3
	v_mul_hi_u32 v10, v1, v2
	v_mul_lo_u32 v2, v1, v2
	v_add_co_u32 v4, vcc_lo, v4, v5
	v_add_co_ci_u32_e32 v5, vcc_lo, 0, v8, vcc_lo
	s_delay_alu instid0(VALU_DEP_2) | instskip(NEXT) | instid1(VALU_DEP_2)
	v_add_co_u32 v3, vcc_lo, v4, v3
	v_add_co_ci_u32_e32 v3, vcc_lo, v5, v9, vcc_lo
	v_add_co_ci_u32_e32 v4, vcc_lo, 0, v10, vcc_lo
	s_delay_alu instid0(VALU_DEP_2) | instskip(NEXT) | instid1(VALU_DEP_2)
	v_add_co_u32 v2, vcc_lo, v3, v2
	v_add_co_ci_u32_e32 v3, vcc_lo, 0, v4, vcc_lo
	s_delay_alu instid0(VALU_DEP_2) | instskip(NEXT) | instid1(VALU_DEP_2)
	v_add_co_u32 v4, vcc_lo, v0, v2
	v_add_co_ci_u32_e32 v8, vcc_lo, v1, v3, vcc_lo
	s_delay_alu instid0(VALU_DEP_2) | instskip(SKIP_1) | instid1(VALU_DEP_3)
	v_mul_hi_u32 v9, v6, v4
	v_mad_u64_u32 v[2:3], null, v7, v4, 0
	v_mad_u64_u32 v[0:1], null, v6, v8, 0
	;; [unrolled: 1-line block ×3, first 2 shown]
	s_delay_alu instid0(VALU_DEP_2) | instskip(NEXT) | instid1(VALU_DEP_3)
	v_add_co_u32 v0, vcc_lo, v9, v0
	v_add_co_ci_u32_e32 v1, vcc_lo, 0, v1, vcc_lo
	s_delay_alu instid0(VALU_DEP_2) | instskip(NEXT) | instid1(VALU_DEP_2)
	v_add_co_u32 v0, vcc_lo, v0, v2
	v_add_co_ci_u32_e32 v0, vcc_lo, v1, v3, vcc_lo
	v_add_co_ci_u32_e32 v1, vcc_lo, 0, v5, vcc_lo
	s_delay_alu instid0(VALU_DEP_2) | instskip(NEXT) | instid1(VALU_DEP_2)
	v_add_co_u32 v2, vcc_lo, v0, v4
	v_add_co_ci_u32_e32 v3, vcc_lo, 0, v1, vcc_lo
	s_delay_alu instid0(VALU_DEP_2) | instskip(SKIP_1) | instid1(VALU_DEP_3)
	v_mul_lo_u32 v4, s9, v2
	v_mad_u64_u32 v[0:1], null, s8, v2, 0
	v_mul_lo_u32 v5, s8, v3
	s_delay_alu instid0(VALU_DEP_2) | instskip(NEXT) | instid1(VALU_DEP_2)
	v_sub_co_u32 v0, vcc_lo, v6, v0
	v_add3_u32 v1, v1, v5, v4
	s_delay_alu instid0(VALU_DEP_1) | instskip(NEXT) | instid1(VALU_DEP_1)
	v_sub_nc_u32_e32 v4, v7, v1
	v_subrev_co_ci_u32_e64 v4, s0, s9, v4, vcc_lo
	v_add_co_u32 v5, s0, v2, 2
	s_delay_alu instid0(VALU_DEP_1) | instskip(SKIP_3) | instid1(VALU_DEP_3)
	v_add_co_ci_u32_e64 v8, s0, 0, v3, s0
	v_sub_co_u32 v9, s0, v0, s8
	v_sub_co_ci_u32_e32 v1, vcc_lo, v7, v1, vcc_lo
	v_subrev_co_ci_u32_e64 v4, s0, 0, v4, s0
	v_cmp_le_u32_e32 vcc_lo, s8, v9
	s_delay_alu instid0(VALU_DEP_3) | instskip(SKIP_1) | instid1(VALU_DEP_4)
	v_cmp_eq_u32_e64 s0, s9, v1
	v_cndmask_b32_e64 v9, 0, -1, vcc_lo
	v_cmp_le_u32_e32 vcc_lo, s9, v4
	v_cndmask_b32_e64 v10, 0, -1, vcc_lo
	v_cmp_le_u32_e32 vcc_lo, s8, v0
	;; [unrolled: 2-line block ×3, first 2 shown]
	v_cndmask_b32_e64 v11, 0, -1, vcc_lo
	v_cmp_eq_u32_e32 vcc_lo, s9, v4
	s_delay_alu instid0(VALU_DEP_2) | instskip(SKIP_3) | instid1(VALU_DEP_3)
	v_cndmask_b32_e64 v0, v11, v0, s0
	v_cndmask_b32_e32 v4, v10, v9, vcc_lo
	v_add_co_u32 v9, vcc_lo, v2, 1
	v_add_co_ci_u32_e32 v10, vcc_lo, 0, v3, vcc_lo
	v_cmp_ne_u32_e32 vcc_lo, 0, v4
	s_delay_alu instid0(VALU_DEP_2) | instskip(SKIP_1) | instid1(VALU_DEP_2)
	v_dual_cndmask_b32 v1, v10, v8 :: v_dual_cndmask_b32 v4, v9, v5
	v_cmp_ne_u32_e32 vcc_lo, 0, v0
	v_dual_cndmask_b32 v1, v3, v1 :: v_dual_cndmask_b32 v0, v2, v4
.LBB48_3:
	s_and_not1_saveexec_b32 s0, s1
	s_cbranch_execz .LBB48_5
; %bb.4:
	v_cvt_f32_u32_e32 v0, s8
	s_sub_i32 s1, 0, s8
	s_delay_alu instid0(VALU_DEP_1) | instskip(SKIP_2) | instid1(VALU_DEP_1)
	v_rcp_iflag_f32_e32 v0, v0
	s_waitcnt_depctr 0xfff
	v_mul_f32_e32 v0, 0x4f7ffffe, v0
	v_cvt_u32_f32_e32 v0, v0
	s_delay_alu instid0(VALU_DEP_1) | instskip(NEXT) | instid1(VALU_DEP_1)
	v_mul_lo_u32 v1, s1, v0
	v_mul_hi_u32 v1, v0, v1
	s_delay_alu instid0(VALU_DEP_1) | instskip(NEXT) | instid1(VALU_DEP_1)
	v_add_nc_u32_e32 v0, v0, v1
	v_mul_hi_u32 v0, v6, v0
	s_delay_alu instid0(VALU_DEP_1) | instskip(SKIP_1) | instid1(VALU_DEP_2)
	v_mul_lo_u32 v1, v0, s8
	v_add_nc_u32_e32 v2, 1, v0
	v_sub_nc_u32_e32 v1, v6, v1
	s_delay_alu instid0(VALU_DEP_1) | instskip(SKIP_1) | instid1(VALU_DEP_2)
	v_subrev_nc_u32_e32 v3, s8, v1
	v_cmp_le_u32_e32 vcc_lo, s8, v1
	v_dual_cndmask_b32 v1, v1, v3 :: v_dual_cndmask_b32 v0, v0, v2
	s_delay_alu instid0(VALU_DEP_1) | instskip(NEXT) | instid1(VALU_DEP_2)
	v_cmp_le_u32_e32 vcc_lo, s8, v1
	v_dual_mov_b32 v1, 0 :: v_dual_add_nc_u32 v2, 1, v0
	s_delay_alu instid0(VALU_DEP_1)
	v_cndmask_b32_e32 v0, v0, v2, vcc_lo
.LBB48_5:
	s_or_b32 exec_lo, exec_lo, s0
	s_delay_alu instid0(VALU_DEP_1) | instskip(NEXT) | instid1(VALU_DEP_2)
	v_mul_lo_u32 v4, v1, s8
	v_mul_lo_u32 v5, v0, s9
	v_mad_u64_u32 v[2:3], null, v0, s8, 0
	s_delay_alu instid0(VALU_DEP_1) | instskip(NEXT) | instid1(VALU_DEP_2)
	v_add3_u32 v3, v3, v5, v4
	v_sub_co_u32 v4, vcc_lo, v6, v2
	v_mov_b32_e32 v2, 0
	s_delay_alu instid0(VALU_DEP_3) | instskip(NEXT) | instid1(VALU_DEP_1)
	v_sub_co_ci_u32_e32 v5, vcc_lo, v7, v3, vcc_lo
	v_or_b32_e32 v3, s11, v5
	s_delay_alu instid0(VALU_DEP_1) | instskip(SKIP_1) | instid1(SALU_CYCLE_1)
	v_cmp_ne_u64_e32 vcc_lo, 0, v[2:3]
                                        ; implicit-def: $vgpr2_vgpr3
	s_and_saveexec_b32 s0, vcc_lo
	s_xor_b32 s1, exec_lo, s0
	s_cbranch_execz .LBB48_7
; %bb.6:
	v_cvt_f32_u32_e32 v2, s10
	v_cvt_f32_u32_e32 v3, s11
	s_sub_u32 s0, 0, s10
	s_subb_u32 s2, 0, s11
	s_delay_alu instid0(VALU_DEP_1) | instskip(NEXT) | instid1(VALU_DEP_1)
	v_fmamk_f32 v2, v3, 0x4f800000, v2
	v_rcp_f32_e32 v2, v2
	s_waitcnt_depctr 0xfff
	v_mul_f32_e32 v2, 0x5f7ffffc, v2
	s_delay_alu instid0(VALU_DEP_1) | instskip(NEXT) | instid1(VALU_DEP_1)
	v_mul_f32_e32 v3, 0x2f800000, v2
	v_trunc_f32_e32 v3, v3
	s_delay_alu instid0(VALU_DEP_1) | instskip(SKIP_1) | instid1(VALU_DEP_2)
	v_fmamk_f32 v2, v3, 0xcf800000, v2
	v_cvt_u32_f32_e32 v3, v3
	v_cvt_u32_f32_e32 v2, v2
	s_delay_alu instid0(VALU_DEP_2) | instskip(NEXT) | instid1(VALU_DEP_2)
	v_mul_lo_u32 v8, s0, v3
	v_mul_hi_u32 v9, s0, v2
	v_mul_lo_u32 v10, s2, v2
	s_delay_alu instid0(VALU_DEP_2) | instskip(SKIP_1) | instid1(VALU_DEP_2)
	v_add_nc_u32_e32 v8, v9, v8
	v_mul_lo_u32 v9, s0, v2
	v_add_nc_u32_e32 v8, v8, v10
	s_delay_alu instid0(VALU_DEP_2) | instskip(NEXT) | instid1(VALU_DEP_2)
	v_mul_hi_u32 v10, v2, v9
	v_mul_lo_u32 v11, v2, v8
	v_mul_hi_u32 v12, v2, v8
	v_mul_hi_u32 v13, v3, v9
	v_mul_lo_u32 v9, v3, v9
	v_mul_hi_u32 v14, v3, v8
	v_mul_lo_u32 v8, v3, v8
	v_add_co_u32 v10, vcc_lo, v10, v11
	v_add_co_ci_u32_e32 v11, vcc_lo, 0, v12, vcc_lo
	s_delay_alu instid0(VALU_DEP_2) | instskip(NEXT) | instid1(VALU_DEP_2)
	v_add_co_u32 v9, vcc_lo, v10, v9
	v_add_co_ci_u32_e32 v9, vcc_lo, v11, v13, vcc_lo
	v_add_co_ci_u32_e32 v10, vcc_lo, 0, v14, vcc_lo
	s_delay_alu instid0(VALU_DEP_2) | instskip(NEXT) | instid1(VALU_DEP_2)
	v_add_co_u32 v8, vcc_lo, v9, v8
	v_add_co_ci_u32_e32 v9, vcc_lo, 0, v10, vcc_lo
	s_delay_alu instid0(VALU_DEP_2) | instskip(NEXT) | instid1(VALU_DEP_2)
	v_add_co_u32 v2, vcc_lo, v2, v8
	v_add_co_ci_u32_e32 v3, vcc_lo, v3, v9, vcc_lo
	s_delay_alu instid0(VALU_DEP_2) | instskip(SKIP_1) | instid1(VALU_DEP_3)
	v_mul_hi_u32 v8, s0, v2
	v_mul_lo_u32 v10, s2, v2
	v_mul_lo_u32 v9, s0, v3
	s_delay_alu instid0(VALU_DEP_1) | instskip(SKIP_1) | instid1(VALU_DEP_2)
	v_add_nc_u32_e32 v8, v8, v9
	v_mul_lo_u32 v9, s0, v2
	v_add_nc_u32_e32 v8, v8, v10
	s_delay_alu instid0(VALU_DEP_2) | instskip(NEXT) | instid1(VALU_DEP_2)
	v_mul_hi_u32 v10, v2, v9
	v_mul_lo_u32 v11, v2, v8
	v_mul_hi_u32 v12, v2, v8
	v_mul_hi_u32 v13, v3, v9
	v_mul_lo_u32 v9, v3, v9
	v_mul_hi_u32 v14, v3, v8
	v_mul_lo_u32 v8, v3, v8
	v_add_co_u32 v10, vcc_lo, v10, v11
	v_add_co_ci_u32_e32 v11, vcc_lo, 0, v12, vcc_lo
	s_delay_alu instid0(VALU_DEP_2) | instskip(NEXT) | instid1(VALU_DEP_2)
	v_add_co_u32 v9, vcc_lo, v10, v9
	v_add_co_ci_u32_e32 v9, vcc_lo, v11, v13, vcc_lo
	v_add_co_ci_u32_e32 v10, vcc_lo, 0, v14, vcc_lo
	s_delay_alu instid0(VALU_DEP_2) | instskip(NEXT) | instid1(VALU_DEP_2)
	v_add_co_u32 v8, vcc_lo, v9, v8
	v_add_co_ci_u32_e32 v9, vcc_lo, 0, v10, vcc_lo
	s_delay_alu instid0(VALU_DEP_2) | instskip(NEXT) | instid1(VALU_DEP_2)
	v_add_co_u32 v10, vcc_lo, v2, v8
	v_add_co_ci_u32_e32 v12, vcc_lo, v3, v9, vcc_lo
	s_delay_alu instid0(VALU_DEP_2) | instskip(SKIP_1) | instid1(VALU_DEP_3)
	v_mul_hi_u32 v13, v4, v10
	v_mad_u64_u32 v[8:9], null, v5, v10, 0
	v_mad_u64_u32 v[2:3], null, v4, v12, 0
	;; [unrolled: 1-line block ×3, first 2 shown]
	s_delay_alu instid0(VALU_DEP_2) | instskip(NEXT) | instid1(VALU_DEP_3)
	v_add_co_u32 v2, vcc_lo, v13, v2
	v_add_co_ci_u32_e32 v3, vcc_lo, 0, v3, vcc_lo
	s_delay_alu instid0(VALU_DEP_2) | instskip(NEXT) | instid1(VALU_DEP_2)
	v_add_co_u32 v2, vcc_lo, v2, v8
	v_add_co_ci_u32_e32 v2, vcc_lo, v3, v9, vcc_lo
	v_add_co_ci_u32_e32 v3, vcc_lo, 0, v11, vcc_lo
	s_delay_alu instid0(VALU_DEP_2) | instskip(NEXT) | instid1(VALU_DEP_2)
	v_add_co_u32 v8, vcc_lo, v2, v10
	v_add_co_ci_u32_e32 v9, vcc_lo, 0, v3, vcc_lo
	s_delay_alu instid0(VALU_DEP_2) | instskip(SKIP_1) | instid1(VALU_DEP_3)
	v_mul_lo_u32 v10, s11, v8
	v_mad_u64_u32 v[2:3], null, s10, v8, 0
	v_mul_lo_u32 v11, s10, v9
	s_delay_alu instid0(VALU_DEP_2) | instskip(NEXT) | instid1(VALU_DEP_2)
	v_sub_co_u32 v2, vcc_lo, v4, v2
	v_add3_u32 v3, v3, v11, v10
	s_delay_alu instid0(VALU_DEP_1) | instskip(NEXT) | instid1(VALU_DEP_1)
	v_sub_nc_u32_e32 v10, v5, v3
	v_subrev_co_ci_u32_e64 v10, s0, s11, v10, vcc_lo
	v_add_co_u32 v11, s0, v8, 2
	s_delay_alu instid0(VALU_DEP_1) | instskip(SKIP_3) | instid1(VALU_DEP_3)
	v_add_co_ci_u32_e64 v12, s0, 0, v9, s0
	v_sub_co_u32 v13, s0, v2, s10
	v_sub_co_ci_u32_e32 v3, vcc_lo, v5, v3, vcc_lo
	v_subrev_co_ci_u32_e64 v10, s0, 0, v10, s0
	v_cmp_le_u32_e32 vcc_lo, s10, v13
	s_delay_alu instid0(VALU_DEP_3) | instskip(SKIP_1) | instid1(VALU_DEP_4)
	v_cmp_eq_u32_e64 s0, s11, v3
	v_cndmask_b32_e64 v13, 0, -1, vcc_lo
	v_cmp_le_u32_e32 vcc_lo, s11, v10
	v_cndmask_b32_e64 v14, 0, -1, vcc_lo
	v_cmp_le_u32_e32 vcc_lo, s10, v2
	;; [unrolled: 2-line block ×3, first 2 shown]
	v_cndmask_b32_e64 v15, 0, -1, vcc_lo
	v_cmp_eq_u32_e32 vcc_lo, s11, v10
	s_delay_alu instid0(VALU_DEP_2) | instskip(SKIP_3) | instid1(VALU_DEP_3)
	v_cndmask_b32_e64 v2, v15, v2, s0
	v_cndmask_b32_e32 v10, v14, v13, vcc_lo
	v_add_co_u32 v13, vcc_lo, v8, 1
	v_add_co_ci_u32_e32 v14, vcc_lo, 0, v9, vcc_lo
	v_cmp_ne_u32_e32 vcc_lo, 0, v10
	s_delay_alu instid0(VALU_DEP_2) | instskip(SKIP_1) | instid1(VALU_DEP_2)
	v_dual_cndmask_b32 v3, v14, v12 :: v_dual_cndmask_b32 v10, v13, v11
	v_cmp_ne_u32_e32 vcc_lo, 0, v2
	v_dual_cndmask_b32 v3, v9, v3 :: v_dual_cndmask_b32 v2, v8, v10
.LBB48_7:
	s_and_not1_saveexec_b32 s0, s1
	s_cbranch_execz .LBB48_9
; %bb.8:
	v_cvt_f32_u32_e32 v2, s10
	s_sub_i32 s1, 0, s10
	s_delay_alu instid0(VALU_DEP_1) | instskip(SKIP_2) | instid1(VALU_DEP_1)
	v_rcp_iflag_f32_e32 v2, v2
	s_waitcnt_depctr 0xfff
	v_mul_f32_e32 v2, 0x4f7ffffe, v2
	v_cvt_u32_f32_e32 v2, v2
	s_delay_alu instid0(VALU_DEP_1) | instskip(NEXT) | instid1(VALU_DEP_1)
	v_mul_lo_u32 v3, s1, v2
	v_mul_hi_u32 v3, v2, v3
	s_delay_alu instid0(VALU_DEP_1) | instskip(NEXT) | instid1(VALU_DEP_1)
	v_add_nc_u32_e32 v2, v2, v3
	v_mul_hi_u32 v2, v4, v2
	s_delay_alu instid0(VALU_DEP_1) | instskip(SKIP_1) | instid1(VALU_DEP_2)
	v_mul_lo_u32 v3, v2, s10
	v_add_nc_u32_e32 v8, 1, v2
	v_sub_nc_u32_e32 v3, v4, v3
	s_delay_alu instid0(VALU_DEP_1) | instskip(SKIP_1) | instid1(VALU_DEP_2)
	v_subrev_nc_u32_e32 v9, s10, v3
	v_cmp_le_u32_e32 vcc_lo, s10, v3
	v_dual_cndmask_b32 v3, v3, v9 :: v_dual_cndmask_b32 v2, v2, v8
	s_delay_alu instid0(VALU_DEP_1) | instskip(NEXT) | instid1(VALU_DEP_2)
	v_cmp_le_u32_e32 vcc_lo, s10, v3
	v_dual_mov_b32 v3, 0 :: v_dual_add_nc_u32 v8, 1, v2
	s_delay_alu instid0(VALU_DEP_1)
	v_cndmask_b32_e32 v2, v2, v8, vcc_lo
.LBB48_9:
	s_or_b32 exec_lo, exec_lo, s0
	s_delay_alu instid0(VALU_DEP_1) | instskip(NEXT) | instid1(VALU_DEP_2)
	v_mul_lo_u32 v12, v3, s10
	v_mul_lo_u32 v13, v2, s11
	v_mad_u64_u32 v[8:9], null, v2, s10, 0
	v_mad_u64_u32 v[10:11], null, v0, s6, v[2:3]
	v_mul_lo_u32 v0, v0, s7
	v_mul_lo_u32 v1, v1, s6
	s_delay_alu instid0(VALU_DEP_4) | instskip(NEXT) | instid1(VALU_DEP_2)
	v_add3_u32 v2, v9, v13, v12
	v_add3_u32 v3, v1, v11, v0
	v_sub_co_u32 v0, vcc_lo, v4, v8
	s_delay_alu instid0(VALU_DEP_3) | instskip(SKIP_1) | instid1(VALU_DEP_4)
	v_sub_co_ci_u32_e32 v1, vcc_lo, v5, v2, vcc_lo
	v_mul_lo_u32 v4, v10, s5
	v_mul_lo_u32 v5, v3, s4
                                        ; implicit-def: $vgpr8
	s_delay_alu instid0(VALU_DEP_3) | instskip(NEXT) | instid1(VALU_DEP_1)
	v_mad_u64_u32 v[2:3], null, v10, s4, v[0:1]
	v_add3_u32 v3, v5, v3, v4
	s_delay_alu instid0(VALU_DEP_2) | instskip(NEXT) | instid1(VALU_DEP_2)
	v_cvt_f64_u32_e32 v[4:5], v2
	v_cvt_f64_u32_e32 v[0:1], v3
	v_cmp_lt_u64_e32 vcc_lo, 0x3fffffff, v[2:3]
                                        ; implicit-def: $vgpr2_vgpr3
	s_delay_alu instid0(VALU_DEP_2) | instskip(NEXT) | instid1(VALU_DEP_1)
	v_ldexp_f64 v[0:1], v[0:1], 32
	v_add_f64 v[4:5], v[0:1], v[4:5]
                                        ; implicit-def: $vgpr0_vgpr1
	s_and_saveexec_b32 s0, vcc_lo
	s_delay_alu instid0(SALU_CYCLE_1)
	s_xor_b32 s1, exec_lo, s0
	s_cbranch_execz .LBB48_11
; %bb.10:
	s_delay_alu instid0(VALU_DEP_1)
	v_trig_preop_f64 v[0:1], v[4:5], 0
	v_trig_preop_f64 v[2:3], v[4:5], 1
	;; [unrolled: 1-line block ×3, first 2 shown]
	v_mov_b32_e32 v24, 0
	s_mov_b32 s2, 0x54442d18
	s_mov_b32 s3, 0x3ff921fb
	;; [unrolled: 1-line block ×4, first 2 shown]
	s_delay_alu instid0(VALU_DEP_4) | instskip(NEXT) | instid1(VALU_DEP_4)
	v_mul_f64 v[8:9], v[0:1], v[4:5]
	v_mul_f64 v[10:11], v[2:3], v[4:5]
	s_delay_alu instid0(VALU_DEP_4) | instskip(NEXT) | instid1(VALU_DEP_3)
	v_mul_f64 v[22:23], v[16:17], v[4:5]
	v_fma_f64 v[0:1], v[0:1], v[4:5], -v[8:9]
	s_delay_alu instid0(VALU_DEP_3) | instskip(NEXT) | instid1(VALU_DEP_3)
	v_fma_f64 v[2:3], v[2:3], v[4:5], -v[10:11]
	v_fma_f64 v[4:5], v[16:17], v[4:5], -v[22:23]
	s_delay_alu instid0(VALU_DEP_3) | instskip(NEXT) | instid1(VALU_DEP_1)
	v_add_f64 v[12:13], v[10:11], v[0:1]
	v_add_f64 v[14:15], v[12:13], -v[10:11]
	v_add_f64 v[20:21], v[8:9], v[12:13]
	s_delay_alu instid0(VALU_DEP_2) | instskip(SKIP_1) | instid1(VALU_DEP_3)
	v_add_f64 v[18:19], v[12:13], -v[14:15]
	v_add_f64 v[0:1], v[0:1], -v[14:15]
	v_ldexp_f64 v[14:15], v[20:21], -2
	v_add_f64 v[8:9], v[20:21], -v[8:9]
	s_delay_alu instid0(VALU_DEP_4) | instskip(SKIP_1) | instid1(VALU_DEP_4)
	v_add_f64 v[10:11], v[10:11], -v[18:19]
	v_add_f64 v[18:19], v[22:23], v[2:3]
	v_cmp_neq_f64_e64 vcc_lo, 0x7ff00000, |v[14:15]|
	s_delay_alu instid0(VALU_DEP_4) | instskip(NEXT) | instid1(VALU_DEP_4)
	v_add_f64 v[8:9], v[12:13], -v[8:9]
	v_add_f64 v[0:1], v[0:1], v[10:11]
	v_fract_f64_e32 v[10:11], v[14:15]
	s_delay_alu instid0(VALU_DEP_2) | instskip(NEXT) | instid1(VALU_DEP_2)
	v_add_f64 v[12:13], v[18:19], v[0:1]
	v_dual_cndmask_b32 v11, 0, v11 :: v_dual_cndmask_b32 v10, 0, v10
	s_delay_alu instid0(VALU_DEP_1) | instskip(NEXT) | instid1(VALU_DEP_3)
	v_ldexp_f64 v[10:11], v[10:11], 2
	v_add_f64 v[14:15], v[8:9], v[12:13]
	s_delay_alu instid0(VALU_DEP_1) | instskip(SKIP_1) | instid1(VALU_DEP_2)
	v_add_f64 v[20:21], v[14:15], v[10:11]
	v_add_f64 v[8:9], v[14:15], -v[8:9]
	v_cmp_gt_f64_e32 vcc_lo, 0, v[20:21]
	v_add_f64 v[20:21], v[18:19], -v[22:23]
	s_delay_alu instid0(VALU_DEP_3) | instskip(SKIP_1) | instid1(VALU_DEP_3)
	v_add_f64 v[8:9], v[12:13], -v[8:9]
	v_cndmask_b32_e64 v25, 0, 0x40100000, vcc_lo
	v_add_f64 v[29:30], v[18:19], -v[20:21]
	v_add_f64 v[2:3], v[2:3], -v[20:21]
	s_delay_alu instid0(VALU_DEP_3) | instskip(SKIP_1) | instid1(VALU_DEP_4)
	v_add_f64 v[10:11], v[10:11], v[24:25]
	v_add_f64 v[25:26], v[12:13], -v[18:19]
	v_add_f64 v[20:21], v[22:23], -v[29:30]
	s_delay_alu instid0(VALU_DEP_3) | instskip(NEXT) | instid1(VALU_DEP_3)
	v_add_f64 v[27:28], v[14:15], v[10:11]
	v_add_f64 v[31:32], v[12:13], -v[25:26]
	v_add_f64 v[0:1], v[0:1], -v[25:26]
	s_delay_alu instid0(VALU_DEP_4) | instskip(NEXT) | instid1(VALU_DEP_4)
	v_add_f64 v[2:3], v[2:3], v[20:21]
	v_cvt_i32_f64_e32 v27, v[27:28]
	s_delay_alu instid0(VALU_DEP_4) | instskip(NEXT) | instid1(VALU_DEP_2)
	v_add_f64 v[18:19], v[18:19], -v[31:32]
	v_cvt_f64_i32_e32 v[25:26], v27
	s_delay_alu instid0(VALU_DEP_2) | instskip(NEXT) | instid1(VALU_DEP_2)
	v_add_f64 v[0:1], v[0:1], v[18:19]
	v_add_f64 v[10:11], v[10:11], -v[25:26]
	s_delay_alu instid0(VALU_DEP_2) | instskip(NEXT) | instid1(VALU_DEP_2)
	v_add_f64 v[0:1], v[2:3], v[0:1]
	v_add_f64 v[2:3], v[14:15], v[10:11]
	s_delay_alu instid0(VALU_DEP_2) | instskip(NEXT) | instid1(VALU_DEP_2)
	v_add_f64 v[0:1], v[4:5], v[0:1]
	v_add_f64 v[4:5], v[2:3], -v[10:11]
	v_cmp_le_f64_e32 vcc_lo, 0.5, v[2:3]
	s_delay_alu instid0(VALU_DEP_3) | instskip(NEXT) | instid1(VALU_DEP_3)
	v_add_f64 v[0:1], v[8:9], v[0:1]
	v_add_f64 v[4:5], v[14:15], -v[4:5]
	v_cndmask_b32_e64 v25, 0, 0x3ff00000, vcc_lo
	v_add_co_ci_u32_e64 v8, s0, 0, v27, vcc_lo
	s_delay_alu instid0(VALU_DEP_2) | instskip(NEXT) | instid1(VALU_DEP_4)
	v_add_f64 v[2:3], v[2:3], -v[24:25]
	v_add_f64 v[0:1], v[0:1], v[4:5]
	s_delay_alu instid0(VALU_DEP_1) | instskip(NEXT) | instid1(VALU_DEP_1)
	v_add_f64 v[4:5], v[2:3], v[0:1]
	v_mul_f64 v[9:10], v[4:5], s[2:3]
	v_add_f64 v[2:3], v[4:5], -v[2:3]
	s_delay_alu instid0(VALU_DEP_2) | instskip(NEXT) | instid1(VALU_DEP_2)
	v_fma_f64 v[11:12], v[4:5], s[2:3], -v[9:10]
	v_add_f64 v[0:1], v[0:1], -v[2:3]
	s_delay_alu instid0(VALU_DEP_2) | instskip(NEXT) | instid1(VALU_DEP_1)
	v_fma_f64 v[2:3], v[4:5], s[4:5], v[11:12]
	v_fma_f64 v[2:3], v[0:1], s[2:3], v[2:3]
	s_delay_alu instid0(VALU_DEP_1) | instskip(NEXT) | instid1(VALU_DEP_1)
	v_add_f64 v[0:1], v[9:10], v[2:3]
	v_add_f64 v[4:5], v[0:1], -v[9:10]
	s_delay_alu instid0(VALU_DEP_1)
	v_add_f64 v[2:3], v[2:3], -v[4:5]
                                        ; implicit-def: $vgpr4_vgpr5
.LBB48_11:
	s_and_not1_saveexec_b32 s0, s1
	s_cbranch_execz .LBB48_13
; %bb.12:
	s_mov_b32 s2, 0x6dc9c883
	s_mov_b32 s3, 0x3fe45f30
	;; [unrolled: 1-line block ×3, first 2 shown]
	s_delay_alu instid0(VALU_DEP_1) | instskip(SKIP_3) | instid1(VALU_DEP_1)
	v_mul_f64 v[0:1], v[4:5], s[2:3]
	s_mov_b32 s2, 0x54442d18
	s_mov_b32 s3, 0xbff921fb
	;; [unrolled: 1-line block ×3, first 2 shown]
	v_rndne_f64_e32 v[8:9], v[0:1]
	s_delay_alu instid0(VALU_DEP_1) | instskip(SKIP_3) | instid1(VALU_DEP_2)
	v_fma_f64 v[0:1], v[8:9], s[2:3], v[4:5]
	v_mul_f64 v[2:3], v[8:9], s[4:5]
	s_mov_b32 s2, 0x252049c0
	s_mov_b32 s3, 0xb97b839a
	v_fma_f64 v[10:11], v[8:9], s[4:5], v[0:1]
	s_delay_alu instid0(VALU_DEP_2) | instskip(SKIP_1) | instid1(VALU_DEP_1)
	v_add_f64 v[4:5], v[0:1], v[2:3]
	s_mov_b32 s5, 0x3c91a626
	v_add_f64 v[0:1], v[0:1], -v[4:5]
	s_delay_alu instid0(VALU_DEP_3) | instskip(NEXT) | instid1(VALU_DEP_2)
	v_add_f64 v[4:5], v[4:5], -v[10:11]
	v_add_f64 v[0:1], v[0:1], v[2:3]
	v_fma_f64 v[2:3], v[8:9], s[4:5], v[2:3]
	s_delay_alu instid0(VALU_DEP_2) | instskip(NEXT) | instid1(VALU_DEP_1)
	v_add_f64 v[0:1], v[4:5], v[0:1]
	v_add_f64 v[0:1], v[0:1], -v[2:3]
	s_delay_alu instid0(VALU_DEP_1) | instskip(SKIP_1) | instid1(VALU_DEP_2)
	v_fma_f64 v[2:3], v[8:9], s[2:3], v[0:1]
	v_cvt_i32_f64_e32 v8, v[8:9]
	v_add_f64 v[0:1], v[10:11], v[2:3]
	s_delay_alu instid0(VALU_DEP_1) | instskip(NEXT) | instid1(VALU_DEP_1)
	v_add_f64 v[4:5], v[0:1], -v[10:11]
	v_add_f64 v[2:3], v[2:3], -v[4:5]
.LBB48_13:
	s_or_b32 exec_lo, exec_lo, s0
	v_mul_f64 v[4:5], v[0:1], v[0:1]
	s_mov_b32 s0, 0xb42fdfa7
	s_mov_b32 s2, 0xf9a43bb8
	;; [unrolled: 1-line block ×4, first 2 shown]
	s_delay_alu instid0(VALU_DEP_2) | instskip(NEXT) | instid1(VALU_DEP_2)
	v_mul_f64 v[17:18], v[2:3], 0.5
	v_fma_f64 v[9:10], v[4:5], s[2:3], s[0:1]
	s_mov_b32 s0, 0x796cde01
	s_mov_b32 s1, 0x3ec71de3
	;; [unrolled: 1-line block ×4, first 2 shown]
	v_mul_f64 v[13:14], v[4:5], 0.5
	v_mul_f64 v[19:20], v[0:1], -v[4:5]
	s_delay_alu instid0(VALU_DEP_3) | instskip(SKIP_2) | instid1(SALU_CYCLE_1)
	v_fma_f64 v[9:10], v[4:5], v[9:10], s[0:1]
	s_mov_b32 s0, 0x46cc5e42
	s_mov_b32 s1, 0xbda907db
	v_fma_f64 v[11:12], v[4:5], s[0:1], s[2:3]
	s_mov_b32 s0, 0x19e83e5c
	s_mov_b32 s1, 0xbf2a01a0
	s_delay_alu instid0(VALU_DEP_4) | instskip(NEXT) | instid1(VALU_DEP_3)
	v_add_f64 v[15:16], -v[13:14], 1.0
	v_fma_f64 v[9:10], v[4:5], v[9:10], s[0:1]
	s_mov_b32 s0, 0xa17f65f6
	s_mov_b32 s1, 0xbe927e4f
	s_delay_alu instid0(VALU_DEP_3) | instid1(SALU_CYCLE_1)
	v_fma_f64 v[11:12], v[4:5], v[11:12], s[0:1]
	s_mov_b32 s0, 0x11110bb3
	s_mov_b32 s1, 0x3f811111
	s_delay_alu instid0(VALU_DEP_3) | instskip(NEXT) | instid1(VALU_DEP_3)
	v_add_f64 v[21:22], -v[15:16], 1.0
	v_fma_f64 v[9:10], v[4:5], v[9:10], s[0:1]
	s_mov_b32 s0, 0x19f4ec90
	s_mov_b32 s1, 0x3efa01a0
	s_delay_alu instid0(VALU_DEP_3) | instid1(SALU_CYCLE_1)
	v_fma_f64 v[11:12], v[4:5], v[11:12], s[0:1]
	s_mov_b32 s0, 0x16c16967
	s_mov_b32 s1, 0xbf56c16c
	s_delay_alu instid0(VALU_DEP_3) | instskip(NEXT) | instid1(VALU_DEP_3)
	v_add_f64 v[13:14], v[21:22], -v[13:14]
	v_fma_f64 v[9:10], v[19:20], v[9:10], v[17:18]
	v_mul_f64 v[17:18], v[4:5], v[4:5]
	s_delay_alu instid0(VALU_DEP_4) | instskip(SKIP_2) | instid1(VALU_DEP_3)
	v_fma_f64 v[11:12], v[4:5], v[11:12], s[0:1]
	s_mov_b32 s1, 0x3fa55555
	s_mov_b32 s0, 0x55555555
	v_fma_f64 v[9:10], v[4:5], v[9:10], -v[2:3]
	v_fma_f64 v[2:3], v[0:1], -v[2:3], v[13:14]
	s_delay_alu instid0(VALU_DEP_3)
	v_fma_f64 v[4:5], v[4:5], v[11:12], s[0:1]
	s_mov_b32 s1, 0xbfc55555
	s_delay_alu instid0(VALU_DEP_3) | instid1(SALU_CYCLE_1)
	v_fma_f64 v[9:10], v[19:20], s[0:1], v[9:10]
	s_mov_b32 s0, 0
	s_mov_b32 s1, 0x7ff00000
	s_delay_alu instid0(VALU_DEP_2) | instskip(NEXT) | instid1(VALU_DEP_2)
	v_fma_f64 v[2:3], v[17:18], v[4:5], v[2:3]
	v_add_f64 v[0:1], v[0:1], -v[9:10]
	s_delay_alu instid0(VALU_DEP_2) | instskip(NEXT) | instid1(VALU_DEP_2)
	v_add_f64 v[2:3], v[15:16], v[2:3]
	v_xor_b32_e32 v1, 0x80000000, v1
	v_and_b32_e32 v4, 1, v8
	s_delay_alu instid0(VALU_DEP_1) | instskip(NEXT) | instid1(VALU_DEP_4)
	v_cmp_eq_u32_e32 vcc_lo, 0, v4
	v_dual_cndmask_b32 v0, v0, v2 :: v_dual_lshlrev_b32 v5, 30, v8
	s_delay_alu instid0(VALU_DEP_1) | instskip(SKIP_1) | instid1(VALU_DEP_2)
	v_dual_cndmask_b32 v1, v1, v3 :: v_dual_and_b32 v4, 0x80000000, v5
	v_mov_b32_e32 v2, 0
	v_xor_b32_e32 v1, v1, v4
	s_delay_alu instid0(VALU_DEP_1) | instskip(NEXT) | instid1(VALU_DEP_1)
	v_and_b32_e32 v3, 0x7ff00000, v1
	v_cmp_ne_u64_e32 vcc_lo, s[0:1], v[2:3]
	s_mov_b32 s0, 1
                                        ; implicit-def: $vgpr2
	s_and_saveexec_b32 s1, vcc_lo
	s_delay_alu instid0(SALU_CYCLE_1)
	s_xor_b32 s2, exec_lo, s1
	s_cbranch_execz .LBB48_25
; %bb.14:
	v_dual_mov_b32 v2, v0 :: v_dual_and_b32 v3, 0x7fffffff, v1
	s_mov_b32 s1, 0x406e0000
	s_delay_alu instid0(VALU_DEP_1) | instid1(SALU_CYCLE_1)
	v_cmp_gt_u64_e32 vcc_lo, s[0:1], v[2:3]
                                        ; implicit-def: $vgpr2
	s_and_saveexec_b32 s0, vcc_lo
	s_delay_alu instid0(SALU_CYCLE_1)
	s_xor_b32 s3, exec_lo, s0
	s_cbranch_execz .LBB48_22
; %bb.15:
	v_mov_b32_e32 v2, 0
	s_mov_b32 s4, exec_lo
	v_cmpx_ne_u64_e32 0, v[0:1]
	s_cbranch_execz .LBB48_21
; %bb.16:
	v_bfe_u32 v12, v1, 20, 11
	v_and_b32_e32 v3, 0xfffff, v1
	s_delay_alu instid0(VALU_DEP_2) | instskip(SKIP_1) | instid1(VALU_DEP_2)
	v_sub_nc_u32_e64 v2, 0x3f8, v12 clamp
	v_cmp_eq_u32_e32 vcc_lo, 0, v12
	v_cndmask_b32_e64 v13, v2, 0x3f7, vcc_lo
	v_mov_b32_e32 v2, v0
	v_or_b32_e32 v4, 0x100000, v3
	s_delay_alu instid0(VALU_DEP_3) | instskip(NEXT) | instid1(VALU_DEP_2)
	v_add_nc_u32_e32 v5, 49, v13
	v_dual_cndmask_b32 v3, v4, v3 :: v_dual_add_nc_u32 v0, 48, v13
	s_delay_alu instid0(VALU_DEP_2) | instskip(NEXT) | instid1(VALU_DEP_2)
	v_lshlrev_b64 v[4:5], v5, -1
	v_lshlrev_b64 v[8:9], v0, 1
	s_delay_alu instid0(VALU_DEP_3) | instskip(SKIP_1) | instid1(VALU_DEP_4)
	v_lshrrev_b64 v[10:11], v13, v[2:3]
	v_add_nc_u32_e32 v0, 0xfffffc09, v12
	v_not_b32_e32 v14, v5
	v_not_b32_e32 v15, v4
	s_delay_alu instid0(VALU_DEP_4) | instskip(NEXT) | instid1(VALU_DEP_4)
	v_dual_mov_b32 v4, 0 :: v_dual_and_b32 v5, 0x20000, v11
	v_cndmask_b32_e64 v0, v0, 0xfffffc0a, vcc_lo
	s_delay_alu instid0(VALU_DEP_4) | instskip(NEXT) | instid1(VALU_DEP_4)
	v_and_b32_e32 v3, v3, v14
	v_and_b32_e32 v2, v2, v15
	s_delay_alu instid0(VALU_DEP_4) | instskip(NEXT) | instid1(VALU_DEP_2)
	v_cmp_eq_u64_e64 s0, 0, v[4:5]
	v_cmp_eq_u64_e64 s1, v[2:3], v[8:9]
	v_lshrrev_b32_e32 v3, 20, v11
	s_delay_alu instid0(VALU_DEP_1) | instskip(NEXT) | instid1(VALU_DEP_3)
	v_add3_u32 v8, v0, v13, v3
	s_and_b32 s0, s0, s1
	s_delay_alu instid0(SALU_CYCLE_1) | instskip(SKIP_1) | instid1(VALU_DEP_2)
	v_cndmask_b32_e64 v2, 0, 1, s0
	s_mov_b32 s0, exec_lo
	v_add_nc_u32_e32 v9, -1, v8
	s_delay_alu instid0(VALU_DEP_2) | instskip(SKIP_1) | instid1(VALU_DEP_2)
	v_sub_co_u32 v2, vcc_lo, v10, v2
	v_subrev_co_ci_u32_e32 v5, vcc_lo, 0, v11, vcc_lo
	v_add_co_u32 v2, vcc_lo, v2, v10
	s_delay_alu instid0(VALU_DEP_2) | instskip(NEXT) | instid1(VALU_DEP_1)
	v_and_b32_e32 v0, 0x1ffff, v5
	v_add_co_ci_u32_e32 v3, vcc_lo, v0, v11, vcc_lo
                                        ; implicit-def: $vgpr0
	v_cmpx_ne_u32_e32 0, v9
	s_xor_b32 s0, exec_lo, s0
; %bb.17:
	s_delay_alu instid0(VALU_DEP_2) | instskip(SKIP_1) | instid1(VALU_DEP_2)
	v_and_b32_e32 v5, 0x200000, v3
	v_bfe_u32 v0, v3, 21, 1
	v_cmp_eq_u64_e32 vcc_lo, 0, v[4:5]
	s_delay_alu instid0(VALU_DEP_2)
	v_lshrrev_b64 v[2:3], v0, v[2:3]
	v_cndmask_b32_e32 v0, v8, v9, vcc_lo
; %bb.18:
	s_and_not1_saveexec_b32 s0, s0
; %bb.19:
	s_delay_alu instid0(VALU_DEP_2)
	v_bfe_u32 v0, v3, 20, 1
; %bb.20:
	s_or_b32 exec_lo, exec_lo, s0
	v_lshrrev_b32_e32 v1, 24, v1
	v_lshrrev_b32_e32 v2, 17, v3
	s_delay_alu instid0(VALU_DEP_3) | instskip(SKIP_4) | instid1(VALU_DEP_2)
	v_cmp_gt_i32_e32 vcc_lo, 16, v0
	v_min_i32_e32 v4, 15, v0
	v_cmp_eq_u32_e64 s0, 0, v0
	v_and_b32_e32 v3, 0x80, v1
	v_dual_cndmask_b32 v1, 7, v2 :: v_dual_mov_b32 v2, 0
	v_lshl_or_b32 v3, v4, 3, v3
	s_delay_alu instid0(VALU_DEP_2) | instskip(NEXT) | instid1(VALU_DEP_2)
	v_cmp_eq_u64_e32 vcc_lo, 0, v[1:2]
	v_and_or_b32 v0, v1, 7, v3
	s_and_b32 s0, s0, vcc_lo
	s_delay_alu instid0(VALU_DEP_1) | instid1(SALU_CYCLE_1)
	v_cndmask_b32_e64 v2, v0, 0, s0
.LBB48_21:
	s_or_b32 exec_lo, exec_lo, s4
                                        ; implicit-def: $vgpr0_vgpr1
.LBB48_22:
	s_and_not1_saveexec_b32 s0, s3
; %bb.23:
	v_lshrrev_b32_e32 v0, 24, v1
	s_delay_alu instid0(VALU_DEP_1)
	v_or_b32_e32 v2, 0x7f, v0
; %bb.24:
	s_or_b32 exec_lo, exec_lo, s0
                                        ; implicit-def: $vgpr0_vgpr1
.LBB48_25:
	s_and_not1_saveexec_b32 s0, s2
; %bb.26:
	v_lshrrev_b32_e32 v2, 24, v1
; %bb.27:
	s_or_b32 exec_lo, exec_lo, s0
	v_add_co_u32 v0, vcc_lo, s16, v6
	v_add_co_ci_u32_e32 v1, vcc_lo, s17, v7, vcc_lo
	global_store_b8 v[0:1], v2, off
.LBB48_28:
	s_nop 0
	s_sendmsg sendmsg(MSG_DEALLOC_VGPRS)
	s_endpgm
	.section	.rodata,"a",@progbits
	.p2align	6, 0x0
	.amdhsa_kernel _Z11fill_kernelI17hipblaslt_f8_fnuzZ21hipblaslt_init_deviceIS0_Ev8ABC_dims24hipblaslt_initializationbPT_mmmmmEUlmE3_EvS5_mmT0_
		.amdhsa_group_segment_fixed_size 0
		.amdhsa_private_segment_fixed_size 0
		.amdhsa_kernarg_size 312
		.amdhsa_user_sgpr_count 15
		.amdhsa_user_sgpr_dispatch_ptr 0
		.amdhsa_user_sgpr_queue_ptr 0
		.amdhsa_user_sgpr_kernarg_segment_ptr 1
		.amdhsa_user_sgpr_dispatch_id 0
		.amdhsa_user_sgpr_private_segment_size 0
		.amdhsa_wavefront_size32 1
		.amdhsa_uses_dynamic_stack 0
		.amdhsa_enable_private_segment 0
		.amdhsa_system_sgpr_workgroup_id_x 1
		.amdhsa_system_sgpr_workgroup_id_y 0
		.amdhsa_system_sgpr_workgroup_id_z 0
		.amdhsa_system_sgpr_workgroup_info 0
		.amdhsa_system_vgpr_workitem_id 0
		.amdhsa_next_free_vgpr 33
		.amdhsa_next_free_sgpr 20
		.amdhsa_reserve_vcc 1
		.amdhsa_float_round_mode_32 0
		.amdhsa_float_round_mode_16_64 0
		.amdhsa_float_denorm_mode_32 3
		.amdhsa_float_denorm_mode_16_64 3
		.amdhsa_dx10_clamp 1
		.amdhsa_ieee_mode 1
		.amdhsa_fp16_overflow 0
		.amdhsa_workgroup_processor_mode 1
		.amdhsa_memory_ordered 1
		.amdhsa_forward_progress 0
		.amdhsa_shared_vgpr_count 0
		.amdhsa_exception_fp_ieee_invalid_op 0
		.amdhsa_exception_fp_denorm_src 0
		.amdhsa_exception_fp_ieee_div_zero 0
		.amdhsa_exception_fp_ieee_overflow 0
		.amdhsa_exception_fp_ieee_underflow 0
		.amdhsa_exception_fp_ieee_inexact 0
		.amdhsa_exception_int_div_zero 0
	.end_amdhsa_kernel
	.section	.text._Z11fill_kernelI17hipblaslt_f8_fnuzZ21hipblaslt_init_deviceIS0_Ev8ABC_dims24hipblaslt_initializationbPT_mmmmmEUlmE3_EvS5_mmT0_,"axG",@progbits,_Z11fill_kernelI17hipblaslt_f8_fnuzZ21hipblaslt_init_deviceIS0_Ev8ABC_dims24hipblaslt_initializationbPT_mmmmmEUlmE3_EvS5_mmT0_,comdat
.Lfunc_end48:
	.size	_Z11fill_kernelI17hipblaslt_f8_fnuzZ21hipblaslt_init_deviceIS0_Ev8ABC_dims24hipblaslt_initializationbPT_mmmmmEUlmE3_EvS5_mmT0_, .Lfunc_end48-_Z11fill_kernelI17hipblaslt_f8_fnuzZ21hipblaslt_init_deviceIS0_Ev8ABC_dims24hipblaslt_initializationbPT_mmmmmEUlmE3_EvS5_mmT0_
                                        ; -- End function
	.section	.AMDGPU.csdata,"",@progbits
; Kernel info:
; codeLenInByte = 4140
; NumSgprs: 22
; NumVgprs: 33
; ScratchSize: 0
; MemoryBound: 0
; FloatMode: 240
; IeeeMode: 1
; LDSByteSize: 0 bytes/workgroup (compile time only)
; SGPRBlocks: 2
; VGPRBlocks: 4
; NumSGPRsForWavesPerEU: 22
; NumVGPRsForWavesPerEU: 33
; Occupancy: 16
; WaveLimiterHint : 0
; COMPUTE_PGM_RSRC2:SCRATCH_EN: 0
; COMPUTE_PGM_RSRC2:USER_SGPR: 15
; COMPUTE_PGM_RSRC2:TRAP_HANDLER: 0
; COMPUTE_PGM_RSRC2:TGID_X_EN: 1
; COMPUTE_PGM_RSRC2:TGID_Y_EN: 0
; COMPUTE_PGM_RSRC2:TGID_Z_EN: 0
; COMPUTE_PGM_RSRC2:TIDIG_COMP_CNT: 0
	.section	.text._Z11fill_kernelI17hipblaslt_f8_fnuzZ21hipblaslt_init_deviceIS0_Ev8ABC_dims24hipblaslt_initializationbPT_mmmmmEUlmE4_EvS5_mmT0_,"axG",@progbits,_Z11fill_kernelI17hipblaslt_f8_fnuzZ21hipblaslt_init_deviceIS0_Ev8ABC_dims24hipblaslt_initializationbPT_mmmmmEUlmE4_EvS5_mmT0_,comdat
	.protected	_Z11fill_kernelI17hipblaslt_f8_fnuzZ21hipblaslt_init_deviceIS0_Ev8ABC_dims24hipblaslt_initializationbPT_mmmmmEUlmE4_EvS5_mmT0_ ; -- Begin function _Z11fill_kernelI17hipblaslt_f8_fnuzZ21hipblaslt_init_deviceIS0_Ev8ABC_dims24hipblaslt_initializationbPT_mmmmmEUlmE4_EvS5_mmT0_
	.globl	_Z11fill_kernelI17hipblaslt_f8_fnuzZ21hipblaslt_init_deviceIS0_Ev8ABC_dims24hipblaslt_initializationbPT_mmmmmEUlmE4_EvS5_mmT0_
	.p2align	8
	.type	_Z11fill_kernelI17hipblaslt_f8_fnuzZ21hipblaslt_init_deviceIS0_Ev8ABC_dims24hipblaslt_initializationbPT_mmmmmEUlmE4_EvS5_mmT0_,@function
_Z11fill_kernelI17hipblaslt_f8_fnuzZ21hipblaslt_init_deviceIS0_Ev8ABC_dims24hipblaslt_initializationbPT_mmmmmEUlmE4_EvS5_mmT0_: ; @_Z11fill_kernelI17hipblaslt_f8_fnuzZ21hipblaslt_init_deviceIS0_Ev8ABC_dims24hipblaslt_initializationbPT_mmmmmEUlmE4_EvS5_mmT0_
; %bb.0:
	s_clause 0x1
	s_load_b32 s2, s[0:1], 0x2c
	s_load_b128 s[4:7], s[0:1], 0x0
	s_waitcnt lgkmcnt(0)
	s_and_b32 s2, s2, 0xffff
	s_delay_alu instid0(SALU_CYCLE_1) | instskip(SKIP_2) | instid1(VALU_DEP_1)
	v_mad_u64_u32 v[1:2], null, s15, s2, v[0:1]
	v_mov_b32_e32 v2, 0
	s_mov_b32 s2, exec_lo
	v_cmpx_gt_u64_e64 s[6:7], v[1:2]
	s_cbranch_execz .LBB49_16
; %bb.1:
	s_load_b64 s[0:1], s[0:1], 0x10
	s_mov_b32 s2, 0x19660d
	s_waitcnt lgkmcnt(0)
	v_add_co_u32 v6, s0, v1, s0
	s_delay_alu instid0(VALU_DEP_1) | instskip(SKIP_1) | instid1(VALU_DEP_2)
	v_add_co_ci_u32_e64 v7, null, 0, s1, s0
	s_mov_b32 s0, 0xffe00000
	v_mad_u64_u32 v[0:1], null, v6, s2, 0x3c6ef35f
	s_mov_b32 s1, 0x41efffff
	s_delay_alu instid0(VALU_DEP_1) | instskip(NEXT) | instid1(VALU_DEP_1)
	v_mad_u64_u32 v[3:4], null, 0x19660d, v7, v[1:2]
	v_mov_b32_e32 v1, v3
	s_delay_alu instid0(VALU_DEP_1) | instskip(NEXT) | instid1(VALU_DEP_1)
	v_lshlrev_b64 v[3:4], 13, v[0:1]
	v_xor_b32_e32 v1, v4, v1
	s_delay_alu instid0(VALU_DEP_2) | instskip(NEXT) | instid1(VALU_DEP_1)
	v_xor_b32_e32 v0, v3, v0
	v_lshrrev_b64 v[3:4], 17, v[0:1]
	s_delay_alu instid0(VALU_DEP_1) | instskip(NEXT) | instid1(VALU_DEP_2)
	v_xor_b32_e32 v1, v4, v1
	v_xor_b32_e32 v0, v3, v0
	s_delay_alu instid0(VALU_DEP_1) | instskip(NEXT) | instid1(VALU_DEP_1)
	v_lshlrev_b64 v[3:4], 5, v[0:1]
	v_xor_b32_e32 v1, v4, v1
	s_delay_alu instid0(VALU_DEP_2) | instskip(NEXT) | instid1(VALU_DEP_1)
	v_xor_b32_e32 v0, v3, v0
	v_lshlrev_b64 v[3:4], 13, v[0:1]
	s_delay_alu instid0(VALU_DEP_1) | instskip(NEXT) | instid1(VALU_DEP_2)
	v_xor_b32_e32 v1, v4, v1
	v_xor_b32_e32 v0, v3, v0
	s_delay_alu instid0(VALU_DEP_1) | instskip(NEXT) | instid1(VALU_DEP_1)
	v_lshrrev_b64 v[3:4], 17, v[0:1]
	v_xor_b32_e32 v1, v4, v1
	s_delay_alu instid0(VALU_DEP_2) | instskip(NEXT) | instid1(VALU_DEP_1)
	v_xor_b32_e32 v0, v3, v0
	v_lshlrev_b64 v[3:4], 5, v[0:1]
	s_delay_alu instid0(VALU_DEP_1) | instskip(NEXT) | instid1(VALU_DEP_2)
	v_xor_b32_e32 v1, v4, v1
	v_xor_b32_e32 v0, v3, v0
	s_delay_alu instid0(VALU_DEP_1) | instskip(NEXT) | instid1(VALU_DEP_1)
	v_lshlrev_b64 v[3:4], 13, v[0:1]
	v_xor_b32_e32 v1, v4, v1
	s_delay_alu instid0(VALU_DEP_2) | instskip(NEXT) | instid1(VALU_DEP_1)
	v_xor_b32_e32 v0, v3, v0
	v_alignbit_b32 v1, v1, v0, 17
	s_delay_alu instid0(VALU_DEP_1) | instskip(NEXT) | instid1(VALU_DEP_1)
	v_xor_b32_e32 v0, v1, v0
	v_lshlrev_b32_e32 v1, 5, v0
	s_delay_alu instid0(VALU_DEP_1) | instskip(NEXT) | instid1(VALU_DEP_1)
	v_xor_b32_e32 v0, v1, v0
	v_cvt_f64_u32_e32 v[0:1], v0
	s_delay_alu instid0(VALU_DEP_1) | instskip(SKIP_1) | instid1(VALU_DEP_2)
	v_div_scale_f64 v[3:4], null, s[0:1], s[0:1], v[0:1]
	v_div_scale_f64 v[12:13], vcc_lo, v[0:1], s[0:1], v[0:1]
	v_rcp_f64_e32 v[8:9], v[3:4]
	s_waitcnt_depctr 0xfff
	v_fma_f64 v[10:11], -v[3:4], v[8:9], 1.0
	s_delay_alu instid0(VALU_DEP_1) | instskip(NEXT) | instid1(VALU_DEP_1)
	v_fma_f64 v[8:9], v[8:9], v[10:11], v[8:9]
	v_fma_f64 v[10:11], -v[3:4], v[8:9], 1.0
	s_delay_alu instid0(VALU_DEP_1) | instskip(NEXT) | instid1(VALU_DEP_1)
	v_fma_f64 v[8:9], v[8:9], v[10:11], v[8:9]
	v_mul_f64 v[10:11], v[12:13], v[8:9]
	s_delay_alu instid0(VALU_DEP_1) | instskip(NEXT) | instid1(VALU_DEP_1)
	v_fma_f64 v[3:4], -v[3:4], v[10:11], v[12:13]
	v_div_fmas_f64 v[3:4], v[3:4], v[8:9], v[10:11]
	s_delay_alu instid0(VALU_DEP_1) | instskip(SKIP_2) | instid1(VALU_DEP_1)
	v_div_fixup_f64 v[0:1], v[3:4], s[0:1], v[0:1]
	s_mov_b32 s0, 0
	s_mov_b32 s1, 0x7ff00000
	v_add_f64 v[0:1], v[0:1], -0.5
	s_delay_alu instid0(VALU_DEP_1) | instskip(NEXT) | instid1(VALU_DEP_1)
	v_and_b32_e32 v3, 0x7ff00000, v1
	v_cmp_ne_u64_e32 vcc_lo, s[0:1], v[2:3]
                                        ; implicit-def: $vgpr2
	s_and_saveexec_b32 s0, vcc_lo
	s_delay_alu instid0(SALU_CYCLE_1)
	s_xor_b32 s2, exec_lo, s0
	s_cbranch_execz .LBB49_13
; %bb.2:
	s_delay_alu instid0(VALU_DEP_3)
	v_dual_mov_b32 v2, v0 :: v_dual_and_b32 v3, 0x7fffffff, v1
	s_mov_b32 s0, 1
	s_mov_b32 s1, 0x406e0000
	s_delay_alu instid0(VALU_DEP_1) | instid1(SALU_CYCLE_1)
	v_cmp_gt_u64_e32 vcc_lo, s[0:1], v[2:3]
                                        ; implicit-def: $vgpr2
	s_and_saveexec_b32 s0, vcc_lo
	s_delay_alu instid0(SALU_CYCLE_1)
	s_xor_b32 s3, exec_lo, s0
	s_cbranch_execz .LBB49_10
; %bb.3:
	v_mov_b32_e32 v2, 0
	s_mov_b32 s6, exec_lo
	v_cmpx_ne_u64_e32 0, v[0:1]
	s_cbranch_execz .LBB49_9
; %bb.4:
	v_bfe_u32 v12, v1, 20, 11
	v_and_b32_e32 v3, 0xfffff, v1
	s_delay_alu instid0(VALU_DEP_2) | instskip(SKIP_1) | instid1(VALU_DEP_2)
	v_sub_nc_u32_e64 v2, 0x3f8, v12 clamp
	v_cmp_eq_u32_e32 vcc_lo, 0, v12
	v_cndmask_b32_e64 v13, v2, 0x3f7, vcc_lo
	v_mov_b32_e32 v2, v0
	v_or_b32_e32 v4, 0x100000, v3
	s_delay_alu instid0(VALU_DEP_3) | instskip(NEXT) | instid1(VALU_DEP_2)
	v_add_nc_u32_e32 v5, 49, v13
	v_dual_cndmask_b32 v3, v4, v3 :: v_dual_add_nc_u32 v0, 48, v13
	s_delay_alu instid0(VALU_DEP_2) | instskip(NEXT) | instid1(VALU_DEP_2)
	v_lshlrev_b64 v[4:5], v5, -1
	v_lshlrev_b64 v[8:9], v0, 1
	s_delay_alu instid0(VALU_DEP_3) | instskip(SKIP_1) | instid1(VALU_DEP_4)
	v_lshrrev_b64 v[10:11], v13, v[2:3]
	v_add_nc_u32_e32 v0, 0xfffffc09, v12
	v_not_b32_e32 v14, v5
	v_not_b32_e32 v15, v4
	s_delay_alu instid0(VALU_DEP_4) | instskip(NEXT) | instid1(VALU_DEP_4)
	v_dual_mov_b32 v4, 0 :: v_dual_and_b32 v5, 0x20000, v11
	v_cndmask_b32_e64 v0, v0, 0xfffffc0a, vcc_lo
	s_delay_alu instid0(VALU_DEP_4) | instskip(NEXT) | instid1(VALU_DEP_4)
	v_and_b32_e32 v3, v3, v14
	v_and_b32_e32 v2, v2, v15
	s_delay_alu instid0(VALU_DEP_4) | instskip(NEXT) | instid1(VALU_DEP_2)
	v_cmp_eq_u64_e64 s0, 0, v[4:5]
	v_cmp_eq_u64_e64 s1, v[2:3], v[8:9]
	v_lshrrev_b32_e32 v3, 20, v11
	s_delay_alu instid0(VALU_DEP_1) | instskip(NEXT) | instid1(VALU_DEP_3)
	v_add3_u32 v8, v0, v13, v3
	s_and_b32 s0, s0, s1
	s_delay_alu instid0(SALU_CYCLE_1) | instskip(SKIP_1) | instid1(VALU_DEP_2)
	v_cndmask_b32_e64 v2, 0, 1, s0
	s_mov_b32 s0, exec_lo
	v_add_nc_u32_e32 v9, -1, v8
	s_delay_alu instid0(VALU_DEP_2) | instskip(SKIP_1) | instid1(VALU_DEP_2)
	v_sub_co_u32 v2, vcc_lo, v10, v2
	v_subrev_co_ci_u32_e32 v5, vcc_lo, 0, v11, vcc_lo
	v_add_co_u32 v2, vcc_lo, v2, v10
	s_delay_alu instid0(VALU_DEP_2) | instskip(NEXT) | instid1(VALU_DEP_1)
	v_and_b32_e32 v0, 0x1ffff, v5
	v_add_co_ci_u32_e32 v3, vcc_lo, v0, v11, vcc_lo
                                        ; implicit-def: $vgpr0
	v_cmpx_ne_u32_e32 0, v9
	s_xor_b32 s0, exec_lo, s0
; %bb.5:
	s_delay_alu instid0(VALU_DEP_2) | instskip(SKIP_1) | instid1(VALU_DEP_2)
	v_and_b32_e32 v5, 0x200000, v3
	v_bfe_u32 v0, v3, 21, 1
	v_cmp_eq_u64_e32 vcc_lo, 0, v[4:5]
	s_delay_alu instid0(VALU_DEP_2)
	v_lshrrev_b64 v[2:3], v0, v[2:3]
	v_cndmask_b32_e32 v0, v8, v9, vcc_lo
; %bb.6:
	s_and_not1_saveexec_b32 s0, s0
; %bb.7:
	s_delay_alu instid0(VALU_DEP_2)
	v_bfe_u32 v0, v3, 20, 1
; %bb.8:
	s_or_b32 exec_lo, exec_lo, s0
	v_lshrrev_b32_e32 v1, 24, v1
	v_lshrrev_b32_e32 v2, 17, v3
	s_delay_alu instid0(VALU_DEP_3) | instskip(SKIP_4) | instid1(VALU_DEP_2)
	v_cmp_gt_i32_e32 vcc_lo, 16, v0
	v_min_i32_e32 v4, 15, v0
	v_cmp_eq_u32_e64 s0, 0, v0
	v_and_b32_e32 v3, 0x80, v1
	v_dual_cndmask_b32 v1, 7, v2 :: v_dual_mov_b32 v2, 0
	v_lshl_or_b32 v3, v4, 3, v3
	s_delay_alu instid0(VALU_DEP_2) | instskip(NEXT) | instid1(VALU_DEP_2)
	v_cmp_eq_u64_e32 vcc_lo, 0, v[1:2]
	v_and_or_b32 v0, v1, 7, v3
	s_and_b32 s0, s0, vcc_lo
	s_delay_alu instid0(VALU_DEP_1) | instid1(SALU_CYCLE_1)
	v_cndmask_b32_e64 v2, v0, 0, s0
.LBB49_9:
	s_or_b32 exec_lo, exec_lo, s6
                                        ; implicit-def: $vgpr0_vgpr1
.LBB49_10:
	s_and_not1_saveexec_b32 s0, s3
; %bb.11:
	v_lshrrev_b32_e32 v0, 24, v1
	s_delay_alu instid0(VALU_DEP_1)
	v_or_b32_e32 v2, 0x7f, v0
; %bb.12:
	s_or_b32 exec_lo, exec_lo, s0
                                        ; implicit-def: $vgpr0_vgpr1
.LBB49_13:
	s_and_not1_saveexec_b32 s0, s2
; %bb.14:
	v_lshrrev_b32_e32 v2, 24, v1
; %bb.15:
	s_or_b32 exec_lo, exec_lo, s0
	v_add_co_u32 v0, vcc_lo, s4, v6
	v_add_co_ci_u32_e32 v1, vcc_lo, s5, v7, vcc_lo
	global_store_b8 v[0:1], v2, off
.LBB49_16:
	s_nop 0
	s_sendmsg sendmsg(MSG_DEALLOC_VGPRS)
	s_endpgm
	.section	.rodata,"a",@progbits
	.p2align	6, 0x0
	.amdhsa_kernel _Z11fill_kernelI17hipblaslt_f8_fnuzZ21hipblaslt_init_deviceIS0_Ev8ABC_dims24hipblaslt_initializationbPT_mmmmmEUlmE4_EvS5_mmT0_
		.amdhsa_group_segment_fixed_size 0
		.amdhsa_private_segment_fixed_size 0
		.amdhsa_kernarg_size 288
		.amdhsa_user_sgpr_count 15
		.amdhsa_user_sgpr_dispatch_ptr 0
		.amdhsa_user_sgpr_queue_ptr 0
		.amdhsa_user_sgpr_kernarg_segment_ptr 1
		.amdhsa_user_sgpr_dispatch_id 0
		.amdhsa_user_sgpr_private_segment_size 0
		.amdhsa_wavefront_size32 1
		.amdhsa_uses_dynamic_stack 0
		.amdhsa_enable_private_segment 0
		.amdhsa_system_sgpr_workgroup_id_x 1
		.amdhsa_system_sgpr_workgroup_id_y 0
		.amdhsa_system_sgpr_workgroup_id_z 0
		.amdhsa_system_sgpr_workgroup_info 0
		.amdhsa_system_vgpr_workitem_id 0
		.amdhsa_next_free_vgpr 16
		.amdhsa_next_free_sgpr 16
		.amdhsa_reserve_vcc 1
		.amdhsa_float_round_mode_32 0
		.amdhsa_float_round_mode_16_64 0
		.amdhsa_float_denorm_mode_32 3
		.amdhsa_float_denorm_mode_16_64 3
		.amdhsa_dx10_clamp 1
		.amdhsa_ieee_mode 1
		.amdhsa_fp16_overflow 0
		.amdhsa_workgroup_processor_mode 1
		.amdhsa_memory_ordered 1
		.amdhsa_forward_progress 0
		.amdhsa_shared_vgpr_count 0
		.amdhsa_exception_fp_ieee_invalid_op 0
		.amdhsa_exception_fp_denorm_src 0
		.amdhsa_exception_fp_ieee_div_zero 0
		.amdhsa_exception_fp_ieee_overflow 0
		.amdhsa_exception_fp_ieee_underflow 0
		.amdhsa_exception_fp_ieee_inexact 0
		.amdhsa_exception_int_div_zero 0
	.end_amdhsa_kernel
	.section	.text._Z11fill_kernelI17hipblaslt_f8_fnuzZ21hipblaslt_init_deviceIS0_Ev8ABC_dims24hipblaslt_initializationbPT_mmmmmEUlmE4_EvS5_mmT0_,"axG",@progbits,_Z11fill_kernelI17hipblaslt_f8_fnuzZ21hipblaslt_init_deviceIS0_Ev8ABC_dims24hipblaslt_initializationbPT_mmmmmEUlmE4_EvS5_mmT0_,comdat
.Lfunc_end49:
	.size	_Z11fill_kernelI17hipblaslt_f8_fnuzZ21hipblaslt_init_deviceIS0_Ev8ABC_dims24hipblaslt_initializationbPT_mmmmmEUlmE4_EvS5_mmT0_, .Lfunc_end49-_Z11fill_kernelI17hipblaslt_f8_fnuzZ21hipblaslt_init_deviceIS0_Ev8ABC_dims24hipblaslt_initializationbPT_mmmmmEUlmE4_EvS5_mmT0_
                                        ; -- End function
	.section	.AMDGPU.csdata,"",@progbits
; Kernel info:
; codeLenInByte = 1056
; NumSgprs: 18
; NumVgprs: 16
; ScratchSize: 0
; MemoryBound: 0
; FloatMode: 240
; IeeeMode: 1
; LDSByteSize: 0 bytes/workgroup (compile time only)
; SGPRBlocks: 2
; VGPRBlocks: 1
; NumSGPRsForWavesPerEU: 18
; NumVGPRsForWavesPerEU: 16
; Occupancy: 16
; WaveLimiterHint : 0
; COMPUTE_PGM_RSRC2:SCRATCH_EN: 0
; COMPUTE_PGM_RSRC2:USER_SGPR: 15
; COMPUTE_PGM_RSRC2:TRAP_HANDLER: 0
; COMPUTE_PGM_RSRC2:TGID_X_EN: 1
; COMPUTE_PGM_RSRC2:TGID_Y_EN: 0
; COMPUTE_PGM_RSRC2:TGID_Z_EN: 0
; COMPUTE_PGM_RSRC2:TIDIG_COMP_CNT: 0
	.section	.text._Z11fill_kernelI17hipblaslt_f8_fnuzZ21hipblaslt_init_deviceIS0_Ev8ABC_dims24hipblaslt_initializationbPT_mmmmmEUlmE5_EvS5_mmT0_,"axG",@progbits,_Z11fill_kernelI17hipblaslt_f8_fnuzZ21hipblaslt_init_deviceIS0_Ev8ABC_dims24hipblaslt_initializationbPT_mmmmmEUlmE5_EvS5_mmT0_,comdat
	.protected	_Z11fill_kernelI17hipblaslt_f8_fnuzZ21hipblaslt_init_deviceIS0_Ev8ABC_dims24hipblaslt_initializationbPT_mmmmmEUlmE5_EvS5_mmT0_ ; -- Begin function _Z11fill_kernelI17hipblaslt_f8_fnuzZ21hipblaslt_init_deviceIS0_Ev8ABC_dims24hipblaslt_initializationbPT_mmmmmEUlmE5_EvS5_mmT0_
	.globl	_Z11fill_kernelI17hipblaslt_f8_fnuzZ21hipblaslt_init_deviceIS0_Ev8ABC_dims24hipblaslt_initializationbPT_mmmmmEUlmE5_EvS5_mmT0_
	.p2align	8
	.type	_Z11fill_kernelI17hipblaslt_f8_fnuzZ21hipblaslt_init_deviceIS0_Ev8ABC_dims24hipblaslt_initializationbPT_mmmmmEUlmE5_EvS5_mmT0_,@function
_Z11fill_kernelI17hipblaslt_f8_fnuzZ21hipblaslt_init_deviceIS0_Ev8ABC_dims24hipblaslt_initializationbPT_mmmmmEUlmE5_EvS5_mmT0_: ; @_Z11fill_kernelI17hipblaslt_f8_fnuzZ21hipblaslt_init_deviceIS0_Ev8ABC_dims24hipblaslt_initializationbPT_mmmmmEUlmE5_EvS5_mmT0_
; %bb.0:
	s_clause 0x1
	s_load_b32 s2, s[0:1], 0x2c
	s_load_b128 s[4:7], s[0:1], 0x0
	s_waitcnt lgkmcnt(0)
	s_and_b32 s2, s2, 0xffff
	s_delay_alu instid0(SALU_CYCLE_1) | instskip(SKIP_2) | instid1(VALU_DEP_1)
	v_mad_u64_u32 v[1:2], null, s15, s2, v[0:1]
	v_mov_b32_e32 v2, 0
	s_mov_b32 s2, exec_lo
	v_cmpx_gt_u64_e64 s[6:7], v[1:2]
	s_cbranch_execz .LBB50_2
; %bb.1:
	s_load_b64 s[0:1], s[0:1], 0x10
	v_mov_b32_e32 v2, 0x7f
	s_waitcnt lgkmcnt(0)
	s_add_u32 s0, s0, s4
	s_addc_u32 s1, s1, s5
	v_add_co_u32 v0, s0, s0, v1
	s_delay_alu instid0(VALU_DEP_1)
	v_add_co_ci_u32_e64 v1, null, s1, 0, s0
	global_store_b8 v[0:1], v2, off
.LBB50_2:
	s_nop 0
	s_sendmsg sendmsg(MSG_DEALLOC_VGPRS)
	s_endpgm
	.section	.rodata,"a",@progbits
	.p2align	6, 0x0
	.amdhsa_kernel _Z11fill_kernelI17hipblaslt_f8_fnuzZ21hipblaslt_init_deviceIS0_Ev8ABC_dims24hipblaslt_initializationbPT_mmmmmEUlmE5_EvS5_mmT0_
		.amdhsa_group_segment_fixed_size 0
		.amdhsa_private_segment_fixed_size 0
		.amdhsa_kernarg_size 288
		.amdhsa_user_sgpr_count 15
		.amdhsa_user_sgpr_dispatch_ptr 0
		.amdhsa_user_sgpr_queue_ptr 0
		.amdhsa_user_sgpr_kernarg_segment_ptr 1
		.amdhsa_user_sgpr_dispatch_id 0
		.amdhsa_user_sgpr_private_segment_size 0
		.amdhsa_wavefront_size32 1
		.amdhsa_uses_dynamic_stack 0
		.amdhsa_enable_private_segment 0
		.amdhsa_system_sgpr_workgroup_id_x 1
		.amdhsa_system_sgpr_workgroup_id_y 0
		.amdhsa_system_sgpr_workgroup_id_z 0
		.amdhsa_system_sgpr_workgroup_info 0
		.amdhsa_system_vgpr_workitem_id 0
		.amdhsa_next_free_vgpr 3
		.amdhsa_next_free_sgpr 16
		.amdhsa_reserve_vcc 0
		.amdhsa_float_round_mode_32 0
		.amdhsa_float_round_mode_16_64 0
		.amdhsa_float_denorm_mode_32 3
		.amdhsa_float_denorm_mode_16_64 3
		.amdhsa_dx10_clamp 1
		.amdhsa_ieee_mode 1
		.amdhsa_fp16_overflow 0
		.amdhsa_workgroup_processor_mode 1
		.amdhsa_memory_ordered 1
		.amdhsa_forward_progress 0
		.amdhsa_shared_vgpr_count 0
		.amdhsa_exception_fp_ieee_invalid_op 0
		.amdhsa_exception_fp_denorm_src 0
		.amdhsa_exception_fp_ieee_div_zero 0
		.amdhsa_exception_fp_ieee_overflow 0
		.amdhsa_exception_fp_ieee_underflow 0
		.amdhsa_exception_fp_ieee_inexact 0
		.amdhsa_exception_int_div_zero 0
	.end_amdhsa_kernel
	.section	.text._Z11fill_kernelI17hipblaslt_f8_fnuzZ21hipblaslt_init_deviceIS0_Ev8ABC_dims24hipblaslt_initializationbPT_mmmmmEUlmE5_EvS5_mmT0_,"axG",@progbits,_Z11fill_kernelI17hipblaslt_f8_fnuzZ21hipblaslt_init_deviceIS0_Ev8ABC_dims24hipblaslt_initializationbPT_mmmmmEUlmE5_EvS5_mmT0_,comdat
.Lfunc_end50:
	.size	_Z11fill_kernelI17hipblaslt_f8_fnuzZ21hipblaslt_init_deviceIS0_Ev8ABC_dims24hipblaslt_initializationbPT_mmmmmEUlmE5_EvS5_mmT0_, .Lfunc_end50-_Z11fill_kernelI17hipblaslt_f8_fnuzZ21hipblaslt_init_deviceIS0_Ev8ABC_dims24hipblaslt_initializationbPT_mmmmmEUlmE5_EvS5_mmT0_
                                        ; -- End function
	.section	.AMDGPU.csdata,"",@progbits
; Kernel info:
; codeLenInByte = 132
; NumSgprs: 16
; NumVgprs: 3
; ScratchSize: 0
; MemoryBound: 0
; FloatMode: 240
; IeeeMode: 1
; LDSByteSize: 0 bytes/workgroup (compile time only)
; SGPRBlocks: 1
; VGPRBlocks: 0
; NumSGPRsForWavesPerEU: 16
; NumVGPRsForWavesPerEU: 3
; Occupancy: 16
; WaveLimiterHint : 0
; COMPUTE_PGM_RSRC2:SCRATCH_EN: 0
; COMPUTE_PGM_RSRC2:USER_SGPR: 15
; COMPUTE_PGM_RSRC2:TRAP_HANDLER: 0
; COMPUTE_PGM_RSRC2:TGID_X_EN: 1
; COMPUTE_PGM_RSRC2:TGID_Y_EN: 0
; COMPUTE_PGM_RSRC2:TGID_Z_EN: 0
; COMPUTE_PGM_RSRC2:TIDIG_COMP_CNT: 0
	.section	.text._Z11fill_kernelI17hipblaslt_f8_fnuzZ21hipblaslt_init_deviceIS0_Ev8ABC_dims24hipblaslt_initializationbPT_mmmmmEUlmE6_EvS5_mmT0_,"axG",@progbits,_Z11fill_kernelI17hipblaslt_f8_fnuzZ21hipblaslt_init_deviceIS0_Ev8ABC_dims24hipblaslt_initializationbPT_mmmmmEUlmE6_EvS5_mmT0_,comdat
	.protected	_Z11fill_kernelI17hipblaslt_f8_fnuzZ21hipblaslt_init_deviceIS0_Ev8ABC_dims24hipblaslt_initializationbPT_mmmmmEUlmE6_EvS5_mmT0_ ; -- Begin function _Z11fill_kernelI17hipblaslt_f8_fnuzZ21hipblaslt_init_deviceIS0_Ev8ABC_dims24hipblaslt_initializationbPT_mmmmmEUlmE6_EvS5_mmT0_
	.globl	_Z11fill_kernelI17hipblaslt_f8_fnuzZ21hipblaslt_init_deviceIS0_Ev8ABC_dims24hipblaslt_initializationbPT_mmmmmEUlmE6_EvS5_mmT0_
	.p2align	8
	.type	_Z11fill_kernelI17hipblaslt_f8_fnuzZ21hipblaslt_init_deviceIS0_Ev8ABC_dims24hipblaslt_initializationbPT_mmmmmEUlmE6_EvS5_mmT0_,@function
_Z11fill_kernelI17hipblaslt_f8_fnuzZ21hipblaslt_init_deviceIS0_Ev8ABC_dims24hipblaslt_initializationbPT_mmmmmEUlmE6_EvS5_mmT0_: ; @_Z11fill_kernelI17hipblaslt_f8_fnuzZ21hipblaslt_init_deviceIS0_Ev8ABC_dims24hipblaslt_initializationbPT_mmmmmEUlmE6_EvS5_mmT0_
; %bb.0:
	s_clause 0x1
	s_load_b32 s2, s[0:1], 0x2c
	s_load_b128 s[4:7], s[0:1], 0x0
	s_waitcnt lgkmcnt(0)
	s_and_b32 s2, s2, 0xffff
	s_delay_alu instid0(SALU_CYCLE_1) | instskip(SKIP_2) | instid1(VALU_DEP_1)
	v_mad_u64_u32 v[1:2], null, s15, s2, v[0:1]
	v_mov_b32_e32 v2, 0
	s_mov_b32 s2, exec_lo
	v_cmpx_gt_u64_e64 s[6:7], v[1:2]
	s_cbranch_execz .LBB51_2
; %bb.1:
	s_load_b64 s[0:1], s[0:1], 0x10
	s_waitcnt lgkmcnt(0)
	s_add_u32 s0, s0, s4
	s_addc_u32 s1, s1, s5
	v_add_co_u32 v0, s0, s0, v1
	s_delay_alu instid0(VALU_DEP_1)
	v_add_co_ci_u32_e64 v1, null, s1, 0, s0
	global_store_b8 v[0:1], v2, off
.LBB51_2:
	s_nop 0
	s_sendmsg sendmsg(MSG_DEALLOC_VGPRS)
	s_endpgm
	.section	.rodata,"a",@progbits
	.p2align	6, 0x0
	.amdhsa_kernel _Z11fill_kernelI17hipblaslt_f8_fnuzZ21hipblaslt_init_deviceIS0_Ev8ABC_dims24hipblaslt_initializationbPT_mmmmmEUlmE6_EvS5_mmT0_
		.amdhsa_group_segment_fixed_size 0
		.amdhsa_private_segment_fixed_size 0
		.amdhsa_kernarg_size 288
		.amdhsa_user_sgpr_count 15
		.amdhsa_user_sgpr_dispatch_ptr 0
		.amdhsa_user_sgpr_queue_ptr 0
		.amdhsa_user_sgpr_kernarg_segment_ptr 1
		.amdhsa_user_sgpr_dispatch_id 0
		.amdhsa_user_sgpr_private_segment_size 0
		.amdhsa_wavefront_size32 1
		.amdhsa_uses_dynamic_stack 0
		.amdhsa_enable_private_segment 0
		.amdhsa_system_sgpr_workgroup_id_x 1
		.amdhsa_system_sgpr_workgroup_id_y 0
		.amdhsa_system_sgpr_workgroup_id_z 0
		.amdhsa_system_sgpr_workgroup_info 0
		.amdhsa_system_vgpr_workitem_id 0
		.amdhsa_next_free_vgpr 3
		.amdhsa_next_free_sgpr 16
		.amdhsa_reserve_vcc 0
		.amdhsa_float_round_mode_32 0
		.amdhsa_float_round_mode_16_64 0
		.amdhsa_float_denorm_mode_32 3
		.amdhsa_float_denorm_mode_16_64 3
		.amdhsa_dx10_clamp 1
		.amdhsa_ieee_mode 1
		.amdhsa_fp16_overflow 0
		.amdhsa_workgroup_processor_mode 1
		.amdhsa_memory_ordered 1
		.amdhsa_forward_progress 0
		.amdhsa_shared_vgpr_count 0
		.amdhsa_exception_fp_ieee_invalid_op 0
		.amdhsa_exception_fp_denorm_src 0
		.amdhsa_exception_fp_ieee_div_zero 0
		.amdhsa_exception_fp_ieee_overflow 0
		.amdhsa_exception_fp_ieee_underflow 0
		.amdhsa_exception_fp_ieee_inexact 0
		.amdhsa_exception_int_div_zero 0
	.end_amdhsa_kernel
	.section	.text._Z11fill_kernelI17hipblaslt_f8_fnuzZ21hipblaslt_init_deviceIS0_Ev8ABC_dims24hipblaslt_initializationbPT_mmmmmEUlmE6_EvS5_mmT0_,"axG",@progbits,_Z11fill_kernelI17hipblaslt_f8_fnuzZ21hipblaslt_init_deviceIS0_Ev8ABC_dims24hipblaslt_initializationbPT_mmmmmEUlmE6_EvS5_mmT0_,comdat
.Lfunc_end51:
	.size	_Z11fill_kernelI17hipblaslt_f8_fnuzZ21hipblaslt_init_deviceIS0_Ev8ABC_dims24hipblaslt_initializationbPT_mmmmmEUlmE6_EvS5_mmT0_, .Lfunc_end51-_Z11fill_kernelI17hipblaslt_f8_fnuzZ21hipblaslt_init_deviceIS0_Ev8ABC_dims24hipblaslt_initializationbPT_mmmmmEUlmE6_EvS5_mmT0_
                                        ; -- End function
	.section	.AMDGPU.csdata,"",@progbits
; Kernel info:
; codeLenInByte = 124
; NumSgprs: 16
; NumVgprs: 3
; ScratchSize: 0
; MemoryBound: 0
; FloatMode: 240
; IeeeMode: 1
; LDSByteSize: 0 bytes/workgroup (compile time only)
; SGPRBlocks: 1
; VGPRBlocks: 0
; NumSGPRsForWavesPerEU: 16
; NumVGPRsForWavesPerEU: 3
; Occupancy: 16
; WaveLimiterHint : 0
; COMPUTE_PGM_RSRC2:SCRATCH_EN: 0
; COMPUTE_PGM_RSRC2:USER_SGPR: 15
; COMPUTE_PGM_RSRC2:TRAP_HANDLER: 0
; COMPUTE_PGM_RSRC2:TGID_X_EN: 1
; COMPUTE_PGM_RSRC2:TGID_Y_EN: 0
; COMPUTE_PGM_RSRC2:TGID_Z_EN: 0
; COMPUTE_PGM_RSRC2:TIDIG_COMP_CNT: 0
	.section	.text._Z11fill_kernelI17hipblaslt_f8_fnuzZ21hipblaslt_init_deviceIS0_Ev8ABC_dims24hipblaslt_initializationbPT_mmmmmEUlmE7_EvS5_mmT0_,"axG",@progbits,_Z11fill_kernelI17hipblaslt_f8_fnuzZ21hipblaslt_init_deviceIS0_Ev8ABC_dims24hipblaslt_initializationbPT_mmmmmEUlmE7_EvS5_mmT0_,comdat
	.protected	_Z11fill_kernelI17hipblaslt_f8_fnuzZ21hipblaslt_init_deviceIS0_Ev8ABC_dims24hipblaslt_initializationbPT_mmmmmEUlmE7_EvS5_mmT0_ ; -- Begin function _Z11fill_kernelI17hipblaslt_f8_fnuzZ21hipblaslt_init_deviceIS0_Ev8ABC_dims24hipblaslt_initializationbPT_mmmmmEUlmE7_EvS5_mmT0_
	.globl	_Z11fill_kernelI17hipblaslt_f8_fnuzZ21hipblaslt_init_deviceIS0_Ev8ABC_dims24hipblaslt_initializationbPT_mmmmmEUlmE7_EvS5_mmT0_
	.p2align	8
	.type	_Z11fill_kernelI17hipblaslt_f8_fnuzZ21hipblaslt_init_deviceIS0_Ev8ABC_dims24hipblaslt_initializationbPT_mmmmmEUlmE7_EvS5_mmT0_,@function
_Z11fill_kernelI17hipblaslt_f8_fnuzZ21hipblaslt_init_deviceIS0_Ev8ABC_dims24hipblaslt_initializationbPT_mmmmmEUlmE7_EvS5_mmT0_: ; @_Z11fill_kernelI17hipblaslt_f8_fnuzZ21hipblaslt_init_deviceIS0_Ev8ABC_dims24hipblaslt_initializationbPT_mmmmmEUlmE7_EvS5_mmT0_
; %bb.0:
	s_clause 0x1
	s_load_b32 s2, s[0:1], 0x2c
	s_load_b128 s[4:7], s[0:1], 0x0
	s_waitcnt lgkmcnt(0)
	s_and_b32 s2, s2, 0xffff
	s_delay_alu instid0(SALU_CYCLE_1) | instskip(SKIP_2) | instid1(VALU_DEP_1)
	v_mad_u64_u32 v[1:2], null, s15, s2, v[0:1]
	v_mov_b32_e32 v2, 0
	s_mov_b32 s2, exec_lo
	v_cmpx_gt_u64_e64 s[6:7], v[1:2]
	s_cbranch_execz .LBB52_8
; %bb.1:
	s_load_b64 s[0:1], s[0:1], 0x10
	s_mov_b32 s2, 0x19660d
	s_waitcnt lgkmcnt(0)
	v_add_co_u32 v4, s0, v1, s0
	s_delay_alu instid0(VALU_DEP_1) | instskip(NEXT) | instid1(VALU_DEP_2)
	v_add_co_ci_u32_e64 v5, null, 0, s1, s0
	v_mad_u64_u32 v[0:1], null, v4, s2, 0x3c6ef35f
	s_delay_alu instid0(VALU_DEP_1) | instskip(NEXT) | instid1(VALU_DEP_1)
	v_mad_u64_u32 v[6:7], null, 0x19660d, v5, v[1:2]
	v_mov_b32_e32 v1, v6
	s_delay_alu instid0(VALU_DEP_1) | instskip(NEXT) | instid1(VALU_DEP_1)
	v_lshlrev_b64 v[6:7], 13, v[0:1]
	v_xor_b32_e32 v1, v7, v1
	s_delay_alu instid0(VALU_DEP_2) | instskip(NEXT) | instid1(VALU_DEP_1)
	v_xor_b32_e32 v0, v6, v0
	v_lshrrev_b64 v[6:7], 17, v[0:1]
	s_delay_alu instid0(VALU_DEP_1) | instskip(NEXT) | instid1(VALU_DEP_2)
	v_xor_b32_e32 v1, v7, v1
	v_xor_b32_e32 v0, v6, v0
	s_delay_alu instid0(VALU_DEP_1) | instskip(NEXT) | instid1(VALU_DEP_1)
	v_lshlrev_b64 v[6:7], 5, v[0:1]
	v_xor_b32_e32 v1, v7, v1
	s_delay_alu instid0(VALU_DEP_2) | instskip(NEXT) | instid1(VALU_DEP_1)
	v_xor_b32_e32 v0, v6, v0
	v_lshlrev_b64 v[6:7], 13, v[0:1]
	s_delay_alu instid0(VALU_DEP_1) | instskip(NEXT) | instid1(VALU_DEP_2)
	v_xor_b32_e32 v1, v7, v1
	v_xor_b32_e32 v0, v6, v0
	s_delay_alu instid0(VALU_DEP_1) | instskip(NEXT) | instid1(VALU_DEP_1)
	v_lshrrev_b64 v[6:7], 17, v[0:1]
	v_xor_b32_e32 v1, v7, v1
	s_delay_alu instid0(VALU_DEP_2) | instskip(NEXT) | instid1(VALU_DEP_1)
	v_xor_b32_e32 v0, v6, v0
	v_lshlrev_b64 v[6:7], 5, v[0:1]
	s_delay_alu instid0(VALU_DEP_1) | instskip(NEXT) | instid1(VALU_DEP_2)
	v_xor_b32_e32 v1, v7, v1
	v_xor_b32_e32 v0, v6, v0
	s_delay_alu instid0(VALU_DEP_1) | instskip(NEXT) | instid1(VALU_DEP_1)
	v_lshlrev_b64 v[6:7], 13, v[0:1]
	v_xor_b32_e32 v1, v7, v1
	s_delay_alu instid0(VALU_DEP_2) | instskip(NEXT) | instid1(VALU_DEP_1)
	v_xor_b32_e32 v0, v6, v0
	v_alignbit_b32 v1, v1, v0, 17
	s_delay_alu instid0(VALU_DEP_1) | instskip(NEXT) | instid1(VALU_DEP_1)
	v_xor_b32_e32 v0, v1, v0
	v_lshlrev_b32_e32 v1, 5, v0
	s_delay_alu instid0(VALU_DEP_1) | instskip(NEXT) | instid1(VALU_DEP_1)
	v_xor_b32_e32 v0, v1, v0
	v_mul_hi_u32 v1, 0xcccccccd, v0
	s_delay_alu instid0(VALU_DEP_1) | instskip(NEXT) | instid1(VALU_DEP_1)
	v_lshrrev_b32_e32 v1, 3, v1
	v_mul_lo_u32 v1, v1, 10
	s_delay_alu instid0(VALU_DEP_1) | instskip(NEXT) | instid1(VALU_DEP_1)
	v_sub_nc_u32_e32 v0, v0, v1
	v_add_nc_u32_e32 v0, 1, v0
	s_delay_alu instid0(VALU_DEP_1) | instskip(NEXT) | instid1(VALU_DEP_1)
	v_cvt_f32_u32_e32 v0, v0
	v_and_b32_e32 v1, 0x7f800000, v0
	v_cmp_gt_u32_e64 s0, 0x43700001, v0
	s_delay_alu instid0(VALU_DEP_2) | instskip(SKIP_1) | instid1(VALU_DEP_3)
	v_cmp_ne_u64_e32 vcc_lo, 0x7f800000, v[1:2]
	v_mov_b32_e32 v1, 0x7f
	s_and_b32 s0, s0, vcc_lo
	s_delay_alu instid0(SALU_CYCLE_1)
	s_and_saveexec_b32 s2, s0
	s_cbranch_execz .LBB52_7
; %bb.2:
	v_lshrrev_b32_e32 v10, 23, v0
	v_cmp_gt_u32_e32 vcc_lo, 0x800000, v0
	v_and_b32_e32 v2, 0x7fffff, v0
	s_delay_alu instid0(VALU_DEP_3) | instskip(SKIP_1) | instid1(VALU_DEP_2)
	v_sub_nc_u32_e64 v1, 0x78, v10 clamp
	v_add_nc_u32_e32 v10, 0xffffff89, v10
	v_cndmask_b32_e64 v11, v1, 0x77, vcc_lo
	v_mov_b32_e32 v1, 0
	v_or_b32_e32 v0, 0x800000, v2
	s_delay_alu instid0(VALU_DEP_3) | instskip(SKIP_1) | instid1(VALU_DEP_3)
	v_add_nc_u32_e32 v3, 20, v11
	v_add_nc_u32_e32 v6, 19, v11
	v_cndmask_b32_e32 v0, v0, v2, vcc_lo
	s_delay_alu instid0(VALU_DEP_3) | instskip(SKIP_1) | instid1(VALU_DEP_3)
	v_lshlrev_b64 v[2:3], v3, -1
	v_mov_b32_e32 v3, v1
	v_lshrrev_b64 v[8:9], v11, v[0:1]
	v_lshlrev_b64 v[6:7], v6, 1
	s_delay_alu instid0(VALU_DEP_4) | instskip(NEXT) | instid1(VALU_DEP_1)
	v_not_b32_e32 v2, v2
	v_and_b32_e32 v2, v0, v2
	s_delay_alu instid0(VALU_DEP_4) | instskip(NEXT) | instid1(VALU_DEP_2)
	v_and_b32_e32 v0, 0x100000, v8
	v_cmp_eq_u64_e64 s0, v[2:3], v[6:7]
	s_delay_alu instid0(VALU_DEP_2) | instskip(SKIP_2) | instid1(VALU_DEP_3)
	v_cmp_eq_u64_e64 s1, 0, v[0:1]
	v_cndmask_b32_e64 v0, v10, 0xffffff8a, vcc_lo
	v_lshrrev_b32_e32 v2, 23, v8
	s_and_b32 vcc_lo, s1, s0
	s_delay_alu instid0(VALU_DEP_1) | instskip(SKIP_2) | instid1(VALU_DEP_2)
	v_add3_u32 v6, v0, v11, v2
	v_subrev_co_ci_u32_e32 v3, vcc_lo, 0, v8, vcc_lo
	s_mov_b32 s0, exec_lo
	v_add_nc_u32_e32 v7, -1, v6
	s_delay_alu instid0(VALU_DEP_2) | instskip(NEXT) | instid1(VALU_DEP_1)
	v_and_b32_e32 v0, 0xfffff, v3
	v_add_co_u32 v2, vcc_lo, v0, v8
	v_add_co_ci_u32_e32 v3, vcc_lo, 0, v9, vcc_lo
                                        ; implicit-def: $vgpr0
	s_delay_alu instid0(VALU_DEP_4)
	v_cmpx_ne_u32_e32 0, v7
	s_xor_b32 s0, exec_lo, s0
; %bb.3:
	s_delay_alu instid0(VALU_DEP_3) | instskip(SKIP_1) | instid1(VALU_DEP_2)
	v_and_b32_e32 v0, 0x1000000, v2
	v_bfe_u32 v8, v2, 24, 1
	v_cmp_eq_u64_e32 vcc_lo, 0, v[0:1]
	s_delay_alu instid0(VALU_DEP_2)
	v_lshrrev_b64 v[2:3], v8, v[2:3]
	v_cndmask_b32_e32 v0, v6, v7, vcc_lo
; %bb.4:
	s_and_not1_saveexec_b32 s0, s0
; %bb.5:
	s_delay_alu instid0(VALU_DEP_2)
	v_bfe_u32 v0, v2, 23, 1
; %bb.6:
	s_or_b32 exec_lo, exec_lo, s0
	s_delay_alu instid0(VALU_DEP_3) | instskip(NEXT) | instid1(VALU_DEP_2)
	v_lshrrev_b64 v[1:2], 20, v[2:3]
	v_cmp_gt_i32_e32 vcc_lo, 16, v0
	v_min_i32_e32 v3, 15, v0
	v_cmp_eq_u32_e64 s0, 0, v0
	s_delay_alu instid0(VALU_DEP_4) | instskip(NEXT) | instid1(VALU_DEP_3)
	v_dual_cndmask_b32 v2, 0, v2 :: v_dual_cndmask_b32 v1, 7, v1
	v_lshlrev_b32_e32 v3, 3, v3
	s_delay_alu instid0(VALU_DEP_2) | instskip(NEXT) | instid1(VALU_DEP_2)
	v_cmp_eq_u64_e32 vcc_lo, 0, v[1:2]
	v_and_or_b32 v0, v1, 7, v3
	s_and_b32 s0, s0, vcc_lo
	s_delay_alu instid0(VALU_DEP_1) | instid1(SALU_CYCLE_1)
	v_cndmask_b32_e64 v1, v0, 0, s0
.LBB52_7:
	s_or_b32 exec_lo, exec_lo, s2
	v_add_co_u32 v2, vcc_lo, s4, v4
	v_add_co_ci_u32_e32 v3, vcc_lo, s5, v5, vcc_lo
	global_store_b8 v[2:3], v1, off
.LBB52_8:
	s_nop 0
	s_sendmsg sendmsg(MSG_DEALLOC_VGPRS)
	s_endpgm
	.section	.rodata,"a",@progbits
	.p2align	6, 0x0
	.amdhsa_kernel _Z11fill_kernelI17hipblaslt_f8_fnuzZ21hipblaslt_init_deviceIS0_Ev8ABC_dims24hipblaslt_initializationbPT_mmmmmEUlmE7_EvS5_mmT0_
		.amdhsa_group_segment_fixed_size 0
		.amdhsa_private_segment_fixed_size 0
		.amdhsa_kernarg_size 288
		.amdhsa_user_sgpr_count 15
		.amdhsa_user_sgpr_dispatch_ptr 0
		.amdhsa_user_sgpr_queue_ptr 0
		.amdhsa_user_sgpr_kernarg_segment_ptr 1
		.amdhsa_user_sgpr_dispatch_id 0
		.amdhsa_user_sgpr_private_segment_size 0
		.amdhsa_wavefront_size32 1
		.amdhsa_uses_dynamic_stack 0
		.amdhsa_enable_private_segment 0
		.amdhsa_system_sgpr_workgroup_id_x 1
		.amdhsa_system_sgpr_workgroup_id_y 0
		.amdhsa_system_sgpr_workgroup_id_z 0
		.amdhsa_system_sgpr_workgroup_info 0
		.amdhsa_system_vgpr_workitem_id 0
		.amdhsa_next_free_vgpr 12
		.amdhsa_next_free_sgpr 16
		.amdhsa_reserve_vcc 1
		.amdhsa_float_round_mode_32 0
		.amdhsa_float_round_mode_16_64 0
		.amdhsa_float_denorm_mode_32 3
		.amdhsa_float_denorm_mode_16_64 3
		.amdhsa_dx10_clamp 1
		.amdhsa_ieee_mode 1
		.amdhsa_fp16_overflow 0
		.amdhsa_workgroup_processor_mode 1
		.amdhsa_memory_ordered 1
		.amdhsa_forward_progress 0
		.amdhsa_shared_vgpr_count 0
		.amdhsa_exception_fp_ieee_invalid_op 0
		.amdhsa_exception_fp_denorm_src 0
		.amdhsa_exception_fp_ieee_div_zero 0
		.amdhsa_exception_fp_ieee_overflow 0
		.amdhsa_exception_fp_ieee_underflow 0
		.amdhsa_exception_fp_ieee_inexact 0
		.amdhsa_exception_int_div_zero 0
	.end_amdhsa_kernel
	.section	.text._Z11fill_kernelI17hipblaslt_f8_fnuzZ21hipblaslt_init_deviceIS0_Ev8ABC_dims24hipblaslt_initializationbPT_mmmmmEUlmE7_EvS5_mmT0_,"axG",@progbits,_Z11fill_kernelI17hipblaslt_f8_fnuzZ21hipblaslt_init_deviceIS0_Ev8ABC_dims24hipblaslt_initializationbPT_mmmmmEUlmE7_EvS5_mmT0_,comdat
.Lfunc_end52:
	.size	_Z11fill_kernelI17hipblaslt_f8_fnuzZ21hipblaslt_init_deviceIS0_Ev8ABC_dims24hipblaslt_initializationbPT_mmmmmEUlmE7_EvS5_mmT0_, .Lfunc_end52-_Z11fill_kernelI17hipblaslt_f8_fnuzZ21hipblaslt_init_deviceIS0_Ev8ABC_dims24hipblaslt_initializationbPT_mmmmmEUlmE7_EvS5_mmT0_
                                        ; -- End function
	.section	.AMDGPU.csdata,"",@progbits
; Kernel info:
; codeLenInByte = 836
; NumSgprs: 18
; NumVgprs: 12
; ScratchSize: 0
; MemoryBound: 0
; FloatMode: 240
; IeeeMode: 1
; LDSByteSize: 0 bytes/workgroup (compile time only)
; SGPRBlocks: 2
; VGPRBlocks: 1
; NumSGPRsForWavesPerEU: 18
; NumVGPRsForWavesPerEU: 12
; Occupancy: 16
; WaveLimiterHint : 0
; COMPUTE_PGM_RSRC2:SCRATCH_EN: 0
; COMPUTE_PGM_RSRC2:USER_SGPR: 15
; COMPUTE_PGM_RSRC2:TRAP_HANDLER: 0
; COMPUTE_PGM_RSRC2:TGID_X_EN: 1
; COMPUTE_PGM_RSRC2:TGID_Y_EN: 0
; COMPUTE_PGM_RSRC2:TGID_Z_EN: 0
; COMPUTE_PGM_RSRC2:TIDIG_COMP_CNT: 0
	.section	.text._Z11fill_kernelI17hipblaslt_f8_fnuzZ21hipblaslt_init_deviceIS0_Ev8ABC_dims24hipblaslt_initializationbPT_mmmmmEUlmE8_EvS5_mmT0_,"axG",@progbits,_Z11fill_kernelI17hipblaslt_f8_fnuzZ21hipblaslt_init_deviceIS0_Ev8ABC_dims24hipblaslt_initializationbPT_mmmmmEUlmE8_EvS5_mmT0_,comdat
	.protected	_Z11fill_kernelI17hipblaslt_f8_fnuzZ21hipblaslt_init_deviceIS0_Ev8ABC_dims24hipblaslt_initializationbPT_mmmmmEUlmE8_EvS5_mmT0_ ; -- Begin function _Z11fill_kernelI17hipblaslt_f8_fnuzZ21hipblaslt_init_deviceIS0_Ev8ABC_dims24hipblaslt_initializationbPT_mmmmmEUlmE8_EvS5_mmT0_
	.globl	_Z11fill_kernelI17hipblaslt_f8_fnuzZ21hipblaslt_init_deviceIS0_Ev8ABC_dims24hipblaslt_initializationbPT_mmmmmEUlmE8_EvS5_mmT0_
	.p2align	8
	.type	_Z11fill_kernelI17hipblaslt_f8_fnuzZ21hipblaslt_init_deviceIS0_Ev8ABC_dims24hipblaslt_initializationbPT_mmmmmEUlmE8_EvS5_mmT0_,@function
_Z11fill_kernelI17hipblaslt_f8_fnuzZ21hipblaslt_init_deviceIS0_Ev8ABC_dims24hipblaslt_initializationbPT_mmmmmEUlmE8_EvS5_mmT0_: ; @_Z11fill_kernelI17hipblaslt_f8_fnuzZ21hipblaslt_init_deviceIS0_Ev8ABC_dims24hipblaslt_initializationbPT_mmmmmEUlmE8_EvS5_mmT0_
; %bb.0:
	s_clause 0x1
	s_load_b32 s2, s[0:1], 0x2c
	s_load_b128 s[4:7], s[0:1], 0x0
	s_waitcnt lgkmcnt(0)
	s_and_b32 s2, s2, 0xffff
	s_delay_alu instid0(SALU_CYCLE_1) | instskip(SKIP_2) | instid1(VALU_DEP_1)
	v_mad_u64_u32 v[1:2], null, s15, s2, v[0:1]
	v_mov_b32_e32 v2, 0
	s_mov_b32 s2, exec_lo
	v_cmpx_gt_u64_e64 s[6:7], v[1:2]
	s_cbranch_execz .LBB53_2
; %bb.1:
	s_load_b64 s[0:1], s[0:1], 0x10
	s_waitcnt lgkmcnt(0)
	s_add_u32 s0, s0, s4
	s_addc_u32 s1, s1, s5
	v_add_co_u32 v0, s0, s0, v1
	s_delay_alu instid0(VALU_DEP_1)
	v_add_co_ci_u32_e64 v1, null, s1, 0, s0
	global_store_b8 v[0:1], v2, off
.LBB53_2:
	s_nop 0
	s_sendmsg sendmsg(MSG_DEALLOC_VGPRS)
	s_endpgm
	.section	.rodata,"a",@progbits
	.p2align	6, 0x0
	.amdhsa_kernel _Z11fill_kernelI17hipblaslt_f8_fnuzZ21hipblaslt_init_deviceIS0_Ev8ABC_dims24hipblaslt_initializationbPT_mmmmmEUlmE8_EvS5_mmT0_
		.amdhsa_group_segment_fixed_size 0
		.amdhsa_private_segment_fixed_size 0
		.amdhsa_kernarg_size 288
		.amdhsa_user_sgpr_count 15
		.amdhsa_user_sgpr_dispatch_ptr 0
		.amdhsa_user_sgpr_queue_ptr 0
		.amdhsa_user_sgpr_kernarg_segment_ptr 1
		.amdhsa_user_sgpr_dispatch_id 0
		.amdhsa_user_sgpr_private_segment_size 0
		.amdhsa_wavefront_size32 1
		.amdhsa_uses_dynamic_stack 0
		.amdhsa_enable_private_segment 0
		.amdhsa_system_sgpr_workgroup_id_x 1
		.amdhsa_system_sgpr_workgroup_id_y 0
		.amdhsa_system_sgpr_workgroup_id_z 0
		.amdhsa_system_sgpr_workgroup_info 0
		.amdhsa_system_vgpr_workitem_id 0
		.amdhsa_next_free_vgpr 3
		.amdhsa_next_free_sgpr 16
		.amdhsa_reserve_vcc 0
		.amdhsa_float_round_mode_32 0
		.amdhsa_float_round_mode_16_64 0
		.amdhsa_float_denorm_mode_32 3
		.amdhsa_float_denorm_mode_16_64 3
		.amdhsa_dx10_clamp 1
		.amdhsa_ieee_mode 1
		.amdhsa_fp16_overflow 0
		.amdhsa_workgroup_processor_mode 1
		.amdhsa_memory_ordered 1
		.amdhsa_forward_progress 0
		.amdhsa_shared_vgpr_count 0
		.amdhsa_exception_fp_ieee_invalid_op 0
		.amdhsa_exception_fp_denorm_src 0
		.amdhsa_exception_fp_ieee_div_zero 0
		.amdhsa_exception_fp_ieee_overflow 0
		.amdhsa_exception_fp_ieee_underflow 0
		.amdhsa_exception_fp_ieee_inexact 0
		.amdhsa_exception_int_div_zero 0
	.end_amdhsa_kernel
	.section	.text._Z11fill_kernelI17hipblaslt_f8_fnuzZ21hipblaslt_init_deviceIS0_Ev8ABC_dims24hipblaslt_initializationbPT_mmmmmEUlmE8_EvS5_mmT0_,"axG",@progbits,_Z11fill_kernelI17hipblaslt_f8_fnuzZ21hipblaslt_init_deviceIS0_Ev8ABC_dims24hipblaslt_initializationbPT_mmmmmEUlmE8_EvS5_mmT0_,comdat
.Lfunc_end53:
	.size	_Z11fill_kernelI17hipblaslt_f8_fnuzZ21hipblaslt_init_deviceIS0_Ev8ABC_dims24hipblaslt_initializationbPT_mmmmmEUlmE8_EvS5_mmT0_, .Lfunc_end53-_Z11fill_kernelI17hipblaslt_f8_fnuzZ21hipblaslt_init_deviceIS0_Ev8ABC_dims24hipblaslt_initializationbPT_mmmmmEUlmE8_EvS5_mmT0_
                                        ; -- End function
	.section	.AMDGPU.csdata,"",@progbits
; Kernel info:
; codeLenInByte = 124
; NumSgprs: 16
; NumVgprs: 3
; ScratchSize: 0
; MemoryBound: 0
; FloatMode: 240
; IeeeMode: 1
; LDSByteSize: 0 bytes/workgroup (compile time only)
; SGPRBlocks: 1
; VGPRBlocks: 0
; NumSGPRsForWavesPerEU: 16
; NumVGPRsForWavesPerEU: 3
; Occupancy: 16
; WaveLimiterHint : 0
; COMPUTE_PGM_RSRC2:SCRATCH_EN: 0
; COMPUTE_PGM_RSRC2:USER_SGPR: 15
; COMPUTE_PGM_RSRC2:TRAP_HANDLER: 0
; COMPUTE_PGM_RSRC2:TGID_X_EN: 1
; COMPUTE_PGM_RSRC2:TGID_Y_EN: 0
; COMPUTE_PGM_RSRC2:TGID_Z_EN: 0
; COMPUTE_PGM_RSRC2:TIDIG_COMP_CNT: 0
	.section	.text._Z11fill_kernelI17hipblaslt_f8_fnuzZ21hipblaslt_init_deviceIS0_Ev8ABC_dims24hipblaslt_initializationbPT_mmmmmEUlmE9_EvS5_mmT0_,"axG",@progbits,_Z11fill_kernelI17hipblaslt_f8_fnuzZ21hipblaslt_init_deviceIS0_Ev8ABC_dims24hipblaslt_initializationbPT_mmmmmEUlmE9_EvS5_mmT0_,comdat
	.protected	_Z11fill_kernelI17hipblaslt_f8_fnuzZ21hipblaslt_init_deviceIS0_Ev8ABC_dims24hipblaslt_initializationbPT_mmmmmEUlmE9_EvS5_mmT0_ ; -- Begin function _Z11fill_kernelI17hipblaslt_f8_fnuzZ21hipblaslt_init_deviceIS0_Ev8ABC_dims24hipblaslt_initializationbPT_mmmmmEUlmE9_EvS5_mmT0_
	.globl	_Z11fill_kernelI17hipblaslt_f8_fnuzZ21hipblaslt_init_deviceIS0_Ev8ABC_dims24hipblaslt_initializationbPT_mmmmmEUlmE9_EvS5_mmT0_
	.p2align	8
	.type	_Z11fill_kernelI17hipblaslt_f8_fnuzZ21hipblaslt_init_deviceIS0_Ev8ABC_dims24hipblaslt_initializationbPT_mmmmmEUlmE9_EvS5_mmT0_,@function
_Z11fill_kernelI17hipblaslt_f8_fnuzZ21hipblaslt_init_deviceIS0_Ev8ABC_dims24hipblaslt_initializationbPT_mmmmmEUlmE9_EvS5_mmT0_: ; @_Z11fill_kernelI17hipblaslt_f8_fnuzZ21hipblaslt_init_deviceIS0_Ev8ABC_dims24hipblaslt_initializationbPT_mmmmmEUlmE9_EvS5_mmT0_
; %bb.0:
	s_clause 0x1
	s_load_b32 s2, s[0:1], 0x2c
	s_load_b128 s[4:7], s[0:1], 0x0
	s_waitcnt lgkmcnt(0)
	s_and_b32 s2, s2, 0xffff
	s_delay_alu instid0(SALU_CYCLE_1) | instskip(SKIP_2) | instid1(VALU_DEP_1)
	v_mad_u64_u32 v[1:2], null, s15, s2, v[0:1]
	v_mov_b32_e32 v2, 0
	s_mov_b32 s2, exec_lo
	v_cmpx_gt_u64_e64 s[6:7], v[1:2]
	s_cbranch_execz .LBB54_16
; %bb.1:
	s_clause 0x1
	s_load_b64 s[2:3], s[0:1], 0x10
	s_load_b32 s0, s[0:1], 0x18
	s_waitcnt lgkmcnt(0)
	v_add_co_u32 v4, s1, v1, s2
	s_delay_alu instid0(VALU_DEP_1) | instskip(NEXT) | instid1(VALU_DEP_2)
	v_add_co_ci_u32_e64 v5, null, 0, s3, s1
	v_add_nc_u32_e32 v6, s0, v4
	s_mov_b32 s0, 0xb90ffb1d
	s_delay_alu instid0(VALU_DEP_1) | instid1(SALU_CYCLE_1)
	v_mad_u64_u32 v[0:1], null, v6, s0, 0xdc6d3ef
	v_mad_u64_u32 v[1:2], null, 0x10dcd, v6, 1
	s_mov_b32 s0, 0x6ab9d291
	s_delay_alu instid0(VALU_DEP_2) | instskip(NEXT) | instid1(VALU_DEP_2)
	v_lshrrev_b32_e32 v3, 2, v0
	v_lshlrev_b32_e32 v7, 4, v1
	s_delay_alu instid0(VALU_DEP_2) | instskip(SKIP_2) | instid1(VALU_DEP_2)
	v_xor_b32_e32 v0, v3, v0
	v_mad_u64_u32 v[2:3], null, v6, s0, 0xffffffffdfb3c992
	s_mov_b32 s0, exec_lo
	v_lshlrev_b32_e32 v3, 1, v0
	s_delay_alu instid0(VALU_DEP_2) | instskip(NEXT) | instid1(VALU_DEP_2)
	v_lshrrev_b32_e32 v8, 2, v2
	v_xor_b32_e32 v3, v7, v3
	s_delay_alu instid0(VALU_DEP_2) | instskip(NEXT) | instid1(VALU_DEP_2)
	v_xor_b32_e32 v7, v8, v2
	v_xor3_b32 v1, v3, v1, v0
                                        ; implicit-def: $vgpr3
	s_delay_alu instid0(VALU_DEP_2) | instskip(NEXT) | instid1(VALU_DEP_2)
	v_lshlrev_b32_e32 v0, 1, v7
	v_lshlrev_b32_e32 v2, 4, v1
	s_delay_alu instid0(VALU_DEP_1) | instskip(SKIP_1) | instid1(VALU_DEP_2)
	v_xor_b32_e32 v0, v0, v2
	v_xor_b32_e32 v2, 0x587c5, v6
                                        ; implicit-def: $vgpr6
	v_xor3_b32 v0, v0, v7, v1
	s_delay_alu instid0(VALU_DEP_1) | instskip(NEXT) | instid1(VALU_DEP_1)
	v_add3_u32 v0, v2, v0, 0xb0f8a
	v_cvt_f32_u32_e32 v0, v0
	s_delay_alu instid0(VALU_DEP_1) | instskip(NEXT) | instid1(VALU_DEP_1)
	v_mul_f32_e32 v0, 0x2f800000, v0
	v_mul_f32_e32 v0, 0x40c90fdb, v0
	s_delay_alu instid0(VALU_DEP_1)
	v_cmpx_ngt_f32_e32 0x48000000, v0
	s_xor_b32 s3, exec_lo, s0
	s_cbranch_execz .LBB54_3
; %bb.2:
	s_mov_b32 s0, 0x7fffff
	v_mov_b32_e32 v8, 0
	v_and_or_b32 v3, v0, s0, 0x800000
	v_lshrrev_b32_e32 v13, 23, v0
	s_delay_alu instid0(VALU_DEP_2) | instskip(NEXT) | instid1(VALU_DEP_2)
	v_mad_u64_u32 v[6:7], null, 0xfe5163ab, v3, 0
	v_add_nc_u32_e32 v14, 0xffffff88, v13
	s_delay_alu instid0(VALU_DEP_1) | instskip(NEXT) | instid1(VALU_DEP_3)
	v_cmp_lt_u32_e32 vcc_lo, 63, v14
	v_mad_u64_u32 v[9:10], null, 0x3c439041, v3, v[7:8]
	v_cndmask_b32_e64 v15, 0, 0xffffffc0, vcc_lo
	s_delay_alu instid0(VALU_DEP_2) | instskip(NEXT) | instid1(VALU_DEP_2)
	v_mov_b32_e32 v7, v10
	v_add_nc_u32_e32 v15, v15, v14
	s_delay_alu instid0(VALU_DEP_2) | instskip(NEXT) | instid1(VALU_DEP_2)
	v_mad_u64_u32 v[10:11], null, 0xdb629599, v3, v[7:8]
	v_cmp_lt_u32_e64 s0, 31, v15
	s_delay_alu instid0(VALU_DEP_1) | instskip(NEXT) | instid1(VALU_DEP_3)
	v_cndmask_b32_e64 v16, 0, 0xffffffe0, s0
	v_dual_mov_b32 v7, v11 :: v_dual_cndmask_b32 v6, v10, v6
	s_delay_alu instid0(VALU_DEP_2) | instskip(NEXT) | instid1(VALU_DEP_2)
	v_add_nc_u32_e32 v16, v16, v15
	v_mad_u64_u32 v[11:12], null, 0xf534ddc0, v3, v[7:8]
	s_delay_alu instid0(VALU_DEP_2) | instskip(NEXT) | instid1(VALU_DEP_2)
	v_cmp_lt_u32_e64 s1, 31, v16
	v_mov_b32_e32 v7, v12
	s_delay_alu instid0(VALU_DEP_3) | instskip(NEXT) | instid1(VALU_DEP_2)
	v_cndmask_b32_e32 v9, v11, v9, vcc_lo
	v_mad_u64_u32 v[12:13], null, 0xfc2757d1, v3, v[7:8]
	s_delay_alu instid0(VALU_DEP_2) | instskip(NEXT) | instid1(VALU_DEP_2)
	v_cndmask_b32_e64 v6, v9, v6, s0
	v_mov_b32_e32 v7, v13
	s_delay_alu instid0(VALU_DEP_1) | instskip(NEXT) | instid1(VALU_DEP_1)
	v_mad_u64_u32 v[13:14], null, 0x4e441529, v3, v[7:8]
	v_mov_b32_e32 v7, v14
	s_delay_alu instid0(VALU_DEP_1) | instskip(SKIP_1) | instid1(VALU_DEP_4)
	v_mad_u64_u32 v[14:15], null, 0xa2f9836e, v3, v[7:8]
	v_cndmask_b32_e64 v3, 0, 0xffffffe0, s1
	v_cndmask_b32_e32 v7, v13, v11, vcc_lo
	s_delay_alu instid0(VALU_DEP_2) | instskip(NEXT) | instid1(VALU_DEP_4)
	v_add_nc_u32_e32 v3, v3, v16
	v_dual_cndmask_b32 v8, v14, v12 :: v_dual_cndmask_b32 v13, v15, v13
	v_cndmask_b32_e32 v12, v12, v10, vcc_lo
	s_delay_alu instid0(VALU_DEP_3) | instskip(NEXT) | instid1(VALU_DEP_3)
	v_cmp_eq_u32_e64 s2, 0, v3
	v_cndmask_b32_e64 v11, v8, v7, s0
	s_delay_alu instid0(VALU_DEP_4) | instskip(NEXT) | instid1(VALU_DEP_4)
	v_cndmask_b32_e64 v8, v13, v8, s0
	v_cndmask_b32_e64 v7, v7, v12, s0
	v_sub_nc_u32_e32 v13, 32, v3
	v_cndmask_b32_e64 v12, v12, v9, s0
	s_delay_alu instid0(VALU_DEP_4) | instskip(NEXT) | instid1(VALU_DEP_4)
	v_cndmask_b32_e64 v8, v8, v11, s1
	v_cndmask_b32_e64 v11, v11, v7, s1
	s_delay_alu instid0(VALU_DEP_3) | instskip(SKIP_1) | instid1(VALU_DEP_3)
	v_cndmask_b32_e64 v7, v7, v12, s1
	v_cndmask_b32_e64 v6, v12, v6, s1
	v_alignbit_b32 v14, v8, v11, v13
	s_delay_alu instid0(VALU_DEP_3) | instskip(NEXT) | instid1(VALU_DEP_3)
	v_alignbit_b32 v15, v11, v7, v13
	v_alignbit_b32 v13, v7, v6, v13
	s_delay_alu instid0(VALU_DEP_3) | instskip(NEXT) | instid1(VALU_DEP_3)
	v_cndmask_b32_e64 v3, v14, v8, s2
	v_cndmask_b32_e64 v8, v15, v11, s2
	s_delay_alu instid0(VALU_DEP_3) | instskip(NEXT) | instid1(VALU_DEP_3)
	v_cndmask_b32_e64 v7, v13, v7, s2
	v_bfe_u32 v10, v3, 29, 1
	s_delay_alu instid0(VALU_DEP_3) | instskip(NEXT) | instid1(VALU_DEP_3)
	v_alignbit_b32 v9, v3, v8, 30
	v_alignbit_b32 v8, v8, v7, 30
	;; [unrolled: 1-line block ×3, first 2 shown]
	s_delay_alu instid0(VALU_DEP_4) | instskip(NEXT) | instid1(VALU_DEP_1)
	v_sub_nc_u32_e32 v11, 0, v10
	v_xor_b32_e32 v12, v9, v11
	v_cmp_ne_u32_e32 vcc_lo, v9, v11
	v_xor_b32_e32 v7, v8, v11
	v_xor_b32_e32 v6, v6, v11
	s_delay_alu instid0(VALU_DEP_4) | instskip(NEXT) | instid1(VALU_DEP_1)
	v_clz_i32_u32_e32 v14, v12
	v_add_nc_u32_e32 v13, 1, v14
	s_delay_alu instid0(VALU_DEP_1) | instskip(NEXT) | instid1(VALU_DEP_1)
	v_cndmask_b32_e32 v9, 33, v13, vcc_lo
	v_sub_nc_u32_e32 v8, 32, v9
	s_delay_alu instid0(VALU_DEP_1) | instskip(SKIP_2) | instid1(VALU_DEP_2)
	v_alignbit_b32 v11, v12, v7, v8
	v_alignbit_b32 v6, v7, v6, v8
	v_lshrrev_b32_e32 v7, 29, v3
	v_alignbit_b32 v8, v11, v6, 9
	s_delay_alu instid0(VALU_DEP_2) | instskip(SKIP_1) | instid1(VALU_DEP_3)
	v_lshlrev_b32_e32 v7, 31, v7
	v_alignbit_b32 v11, v9, v11, 9
	v_clz_i32_u32_e32 v12, v8
	s_delay_alu instid0(VALU_DEP_2) | instskip(SKIP_1) | instid1(VALU_DEP_3)
	v_or_b32_e32 v11, v11, v7
	v_or_b32_e32 v7, 0x33800000, v7
	v_min_u32_e32 v12, 32, v12
	s_delay_alu instid0(VALU_DEP_3) | instskip(NEXT) | instid1(VALU_DEP_2)
	v_xor_b32_e32 v11, 1.0, v11
	v_sub_nc_u32_e32 v13, 31, v12
	v_add_lshl_u32 v9, v12, v9, 23
	s_delay_alu instid0(VALU_DEP_3) | instskip(NEXT) | instid1(VALU_DEP_3)
	v_mul_f32_e32 v12, 0x3fc90fda, v11
	v_alignbit_b32 v6, v8, v6, v13
	s_delay_alu instid0(VALU_DEP_3) | instskip(NEXT) | instid1(VALU_DEP_3)
	v_sub_nc_u32_e32 v7, v7, v9
	v_fma_f32 v8, 0x3fc90fda, v11, -v12
	s_delay_alu instid0(VALU_DEP_3) | instskip(NEXT) | instid1(VALU_DEP_2)
	v_lshrrev_b32_e32 v6, 9, v6
	v_fmamk_f32 v8, v11, 0x33a22168, v8
	s_delay_alu instid0(VALU_DEP_2) | instskip(NEXT) | instid1(VALU_DEP_1)
	v_or_b32_e32 v6, v7, v6
	v_fmac_f32_e32 v8, 0x3fc90fda, v6
	v_lshrrev_b32_e32 v6, 30, v3
	s_delay_alu instid0(VALU_DEP_1)
	v_dual_add_f32 v3, v12, v8 :: v_dual_add_nc_u32 v6, v10, v6
.LBB54_3:
	s_and_not1_saveexec_b32 s0, s3
; %bb.4:
	v_mul_f32_e32 v3, 0x3f22f983, v0
	s_delay_alu instid0(VALU_DEP_1) | instskip(NEXT) | instid1(VALU_DEP_1)
	v_rndne_f32_e32 v6, v3
	v_fmamk_f32 v3, v6, 0xbfc90fda, v0
	s_delay_alu instid0(VALU_DEP_1) | instskip(NEXT) | instid1(VALU_DEP_1)
	v_fmamk_f32 v3, v6, 0xb3a22168, v3
	v_fmamk_f32 v3, v6, 0xa7c234c4, v3
	v_cvt_i32_f32_e32 v6, v6
; %bb.5:
	s_or_b32 exec_lo, exec_lo, s0
	v_add3_u32 v1, v2, v1, 0x587c5
	s_mov_b32 s0, 0xb94c1982
	s_delay_alu instid0(VALU_DEP_2) | instskip(SKIP_3) | instid1(VALU_DEP_2)
	v_and_b32_e32 v13, 1, v6
	s_mov_b32 s1, 0x37d75334
	v_lshlrev_b32_e32 v6, 30, v6
	v_cvt_f32_u32_e32 v1, v1
	v_and_b32_e32 v6, 0x80000000, v6
	s_delay_alu instid0(VALU_DEP_2) | instskip(NEXT) | instid1(VALU_DEP_1)
	v_mul_f32_e32 v1, 0x2f800000, v1
	v_cmp_ngt_f32_e32 vcc_lo, 0x2edbe6ff, v1
	v_cndmask_b32_e32 v1, 0x2edbe6ff, v1, vcc_lo
	s_delay_alu instid0(VALU_DEP_1) | instskip(SKIP_1) | instid1(VALU_DEP_1)
	v_cmp_gt_f32_e32 vcc_lo, 0x800000, v1
	v_cndmask_b32_e64 v2, 1.0, 0x4f800000, vcc_lo
	v_mul_f32_e32 v1, v1, v2
	s_delay_alu instid0(VALU_DEP_1) | instskip(SKIP_2) | instid1(VALU_DEP_1)
	v_log_f32_e32 v1, v1
	s_waitcnt_depctr 0xfff
	v_mul_f32_e32 v2, 0x3f317217, v1
	v_fma_f32 v7, 0x3f317217, v1, -v2
	s_delay_alu instid0(VALU_DEP_1) | instskip(NEXT) | instid1(VALU_DEP_1)
	v_fmamk_f32 v7, v1, 0x3377d1cf, v7
	v_add_f32_e32 v2, v2, v7
	v_cndmask_b32_e64 v7, 0, 0x41b17218, vcc_lo
	v_cmp_gt_f32_e64 vcc_lo, 0x7f800000, |v1|
	s_delay_alu instid0(VALU_DEP_3) | instskip(NEXT) | instid1(VALU_DEP_1)
	v_cndmask_b32_e32 v1, v1, v2, vcc_lo
	v_sub_f32_e32 v1, v1, v7
	v_mul_f32_e32 v7, v3, v3
	s_delay_alu instid0(VALU_DEP_1) | instskip(SKIP_1) | instid1(VALU_DEP_2)
	v_fmaak_f32 v8, s0, v7, 0x3c0881c4
	v_fmaak_f32 v9, s1, v7, 0xbab64f3b
	v_dual_fmaak_f32 v8, v7, v8, 0xbe2aaa9d :: v_dual_mul_f32 v1, -2.0, v1
	s_delay_alu instid0(VALU_DEP_2) | instskip(NEXT) | instid1(VALU_DEP_2)
	v_fmaak_f32 v9, v7, v9, 0x3d2aabf7
	v_mul_f32_e32 v8, v7, v8
	s_delay_alu instid0(VALU_DEP_3) | instskip(SKIP_1) | instid1(VALU_DEP_4)
	v_mul_f32_e32 v2, 0x4f800000, v1
	v_cmp_gt_f32_e32 vcc_lo, 0xf800000, v1
	v_fmaak_f32 v9, v7, v9, 0xbf000004
	s_delay_alu instid0(VALU_DEP_4) | instskip(NEXT) | instid1(VALU_DEP_4)
	v_fmac_f32_e32 v3, v3, v8
	v_cndmask_b32_e32 v1, v1, v2, vcc_lo
	s_delay_alu instid0(VALU_DEP_3) | instskip(NEXT) | instid1(VALU_DEP_2)
	v_fma_f32 v7, v7, v9, 1.0
	v_sqrt_f32_e32 v2, v1
	s_waitcnt_depctr 0xfff
	v_add_nc_u32_e32 v10, -1, v2
	v_add_nc_u32_e32 v11, 1, v2
	s_delay_alu instid0(VALU_DEP_2) | instskip(NEXT) | instid1(VALU_DEP_2)
	v_fma_f32 v12, -v10, v2, v1
	v_fma_f32 v14, -v11, v2, v1
	s_delay_alu instid0(VALU_DEP_2) | instskip(NEXT) | instid1(VALU_DEP_1)
	v_cmp_ge_f32_e64 s0, 0, v12
	v_cndmask_b32_e64 v2, v2, v10, s0
	s_delay_alu instid0(VALU_DEP_3) | instskip(NEXT) | instid1(VALU_DEP_1)
	v_cmp_lt_f32_e64 s0, 0, v14
	v_cndmask_b32_e64 v2, v2, v11, s0
	v_cmp_eq_u32_e64 s0, 0, v13
	s_delay_alu instid0(VALU_DEP_1) | instskip(NEXT) | instid1(VALU_DEP_3)
	v_cndmask_b32_e64 v3, -v3, v7, s0
	v_mul_f32_e32 v7, 0x37800000, v2
	s_mov_b32 s0, exec_lo
	s_delay_alu instid0(VALU_DEP_2) | instskip(NEXT) | instid1(VALU_DEP_2)
	v_xor_b32_e32 v3, v6, v3
	v_cndmask_b32_e32 v2, v2, v7, vcc_lo
	v_cmp_lg_f32_e32 vcc_lo, 0x7f800000, v0
	s_delay_alu instid0(VALU_DEP_3) | instskip(SKIP_1) | instid1(VALU_DEP_4)
	v_cndmask_b32_e32 v0, 0x7fc00000, v3, vcc_lo
	v_cmp_class_f32_e64 vcc_lo, v1, 0x260
	v_cndmask_b32_e32 v1, v2, v1, vcc_lo
	s_delay_alu instid0(VALU_DEP_1) | instskip(NEXT) | instid1(VALU_DEP_1)
	v_mul_f32_e32 v3, v1, v0
	v_dual_mov_b32 v1, 0 :: v_dual_and_b32 v0, 0x7f800000, v3
	v_lshrrev_b32_e32 v6, 24, v3
	s_delay_alu instid0(VALU_DEP_1) | instskip(NEXT) | instid1(VALU_DEP_3)
	v_or_b32_e32 v2, 0x7f, v6
	v_cmpx_ne_u64_e32 0x7f800000, v[0:1]
	s_xor_b32 s2, exec_lo, s0
	s_cbranch_execz .LBB54_15
; %bb.6:
	v_and_b32_e32 v0, 0x7fffffff, v3
	s_mov_b32 s0, exec_lo
	s_delay_alu instid0(VALU_DEP_1)
	v_cmpx_gt_u64_e32 0x43700001, v[0:1]
	s_xor_b32 s3, exec_lo, s0
	s_cbranch_execz .LBB54_14
; %bb.7:
	v_mov_b32_e32 v2, 0
	s_mov_b32 s6, exec_lo
	v_cmpx_ne_u32_e32 0, v3
	s_cbranch_execz .LBB54_13
; %bb.8:
	v_bfe_u32 v11, v3, 23, 8
	v_dual_mov_b32 v1, 0 :: v_dual_and_b32 v2, 0x7fffff, v3
	s_delay_alu instid0(VALU_DEP_2) | instskip(SKIP_2) | instid1(VALU_DEP_3)
	v_sub_nc_u32_e64 v0, 0x78, v11 clamp
	v_cmp_eq_u32_e32 vcc_lo, 0, v11
	v_add_nc_u32_e32 v11, 0xffffff89, v11
	v_cndmask_b32_e64 v12, v0, 0x77, vcc_lo
	v_or_b32_e32 v0, 0x800000, v2
	s_delay_alu instid0(VALU_DEP_1) | instskip(SKIP_1) | instid1(VALU_DEP_2)
	v_dual_cndmask_b32 v0, v0, v2 :: v_dual_add_nc_u32 v3, 20, v12
	v_add_nc_u32_e32 v7, 19, v12
	v_lshlrev_b64 v[2:3], v3, -1
	s_delay_alu instid0(VALU_DEP_3) | instskip(NEXT) | instid1(VALU_DEP_3)
	v_lshrrev_b64 v[9:10], v12, v[0:1]
	v_lshlrev_b64 v[7:8], v7, 1
	s_delay_alu instid0(VALU_DEP_3) | instskip(NEXT) | instid1(VALU_DEP_1)
	v_not_b32_e32 v2, v2
	v_dual_mov_b32 v3, v1 :: v_dual_and_b32 v2, v0, v2
	s_delay_alu instid0(VALU_DEP_4) | instskip(NEXT) | instid1(VALU_DEP_2)
	v_and_b32_e32 v0, 0x100000, v9
	v_cmp_eq_u64_e64 s0, v[2:3], v[7:8]
	s_delay_alu instid0(VALU_DEP_2) | instskip(SKIP_2) | instid1(VALU_DEP_3)
	v_cmp_eq_u64_e64 s1, 0, v[0:1]
	v_cndmask_b32_e64 v0, v11, 0xffffff8a, vcc_lo
	v_lshrrev_b32_e32 v2, 23, v9
	s_and_b32 vcc_lo, s1, s0
	s_delay_alu instid0(VALU_DEP_1) | instskip(SKIP_2) | instid1(VALU_DEP_2)
	v_add3_u32 v7, v0, v12, v2
	v_subrev_co_ci_u32_e32 v3, vcc_lo, 0, v9, vcc_lo
	s_mov_b32 s0, exec_lo
	v_add_nc_u32_e32 v8, -1, v7
	s_delay_alu instid0(VALU_DEP_2) | instskip(NEXT) | instid1(VALU_DEP_1)
	v_and_b32_e32 v0, 0xfffff, v3
	v_add_co_u32 v2, vcc_lo, v0, v9
	v_add_co_ci_u32_e32 v3, vcc_lo, 0, v10, vcc_lo
                                        ; implicit-def: $vgpr0
	s_delay_alu instid0(VALU_DEP_4)
	v_cmpx_ne_u32_e32 0, v8
	s_xor_b32 s0, exec_lo, s0
; %bb.9:
	s_delay_alu instid0(VALU_DEP_3) | instskip(SKIP_1) | instid1(VALU_DEP_2)
	v_and_b32_e32 v0, 0x1000000, v2
	v_bfe_u32 v9, v2, 24, 1
	v_cmp_eq_u64_e32 vcc_lo, 0, v[0:1]
	s_delay_alu instid0(VALU_DEP_2)
	v_lshrrev_b64 v[2:3], v9, v[2:3]
	v_cndmask_b32_e32 v0, v7, v8, vcc_lo
; %bb.10:
	s_and_not1_saveexec_b32 s0, s0
; %bb.11:
	s_delay_alu instid0(VALU_DEP_2)
	v_bfe_u32 v0, v2, 23, 1
; %bb.12:
	s_or_b32 exec_lo, exec_lo, s0
	s_delay_alu instid0(VALU_DEP_3) | instskip(NEXT) | instid1(VALU_DEP_2)
	v_lshrrev_b64 v[1:2], 20, v[2:3]
	v_cmp_gt_i32_e32 vcc_lo, 16, v0
	v_and_b32_e32 v3, 0x80, v6
	v_min_i32_e32 v6, 15, v0
	v_cmp_eq_u32_e64 s0, 0, v0
	v_dual_cndmask_b32 v2, 0, v2 :: v_dual_cndmask_b32 v1, 7, v1
	s_delay_alu instid0(VALU_DEP_3) | instskip(NEXT) | instid1(VALU_DEP_2)
	v_lshl_or_b32 v3, v6, 3, v3
	v_cmp_eq_u64_e32 vcc_lo, 0, v[1:2]
	s_delay_alu instid0(VALU_DEP_2)
	v_and_or_b32 v0, v1, 7, v3
	s_and_b32 s0, s0, vcc_lo
	s_delay_alu instid0(VALU_DEP_1) | instid1(SALU_CYCLE_1)
	v_cndmask_b32_e64 v2, v0, 0, s0
.LBB54_13:
	s_or_b32 exec_lo, exec_lo, s6
.LBB54_14:
	s_and_not1_saveexec_b32 s0, s3
	s_delay_alu instid0(SALU_CYCLE_1)
	s_or_b32 exec_lo, exec_lo, s0
.LBB54_15:
	s_and_not1_saveexec_b32 s0, s2
	s_delay_alu instid0(SALU_CYCLE_1)
	s_or_b32 exec_lo, exec_lo, s0
	v_add_co_u32 v0, vcc_lo, s4, v4
	v_add_co_ci_u32_e32 v1, vcc_lo, s5, v5, vcc_lo
	global_store_b8 v[0:1], v2, off
.LBB54_16:
	s_nop 0
	s_sendmsg sendmsg(MSG_DEALLOC_VGPRS)
	s_endpgm
	.section	.rodata,"a",@progbits
	.p2align	6, 0x0
	.amdhsa_kernel _Z11fill_kernelI17hipblaslt_f8_fnuzZ21hipblaslt_init_deviceIS0_Ev8ABC_dims24hipblaslt_initializationbPT_mmmmmEUlmE9_EvS5_mmT0_
		.amdhsa_group_segment_fixed_size 0
		.amdhsa_private_segment_fixed_size 0
		.amdhsa_kernarg_size 288
		.amdhsa_user_sgpr_count 15
		.amdhsa_user_sgpr_dispatch_ptr 0
		.amdhsa_user_sgpr_queue_ptr 0
		.amdhsa_user_sgpr_kernarg_segment_ptr 1
		.amdhsa_user_sgpr_dispatch_id 0
		.amdhsa_user_sgpr_private_segment_size 0
		.amdhsa_wavefront_size32 1
		.amdhsa_uses_dynamic_stack 0
		.amdhsa_enable_private_segment 0
		.amdhsa_system_sgpr_workgroup_id_x 1
		.amdhsa_system_sgpr_workgroup_id_y 0
		.amdhsa_system_sgpr_workgroup_id_z 0
		.amdhsa_system_sgpr_workgroup_info 0
		.amdhsa_system_vgpr_workitem_id 0
		.amdhsa_next_free_vgpr 17
		.amdhsa_next_free_sgpr 16
		.amdhsa_reserve_vcc 1
		.amdhsa_float_round_mode_32 0
		.amdhsa_float_round_mode_16_64 0
		.amdhsa_float_denorm_mode_32 3
		.amdhsa_float_denorm_mode_16_64 3
		.amdhsa_dx10_clamp 1
		.amdhsa_ieee_mode 1
		.amdhsa_fp16_overflow 0
		.amdhsa_workgroup_processor_mode 1
		.amdhsa_memory_ordered 1
		.amdhsa_forward_progress 0
		.amdhsa_shared_vgpr_count 0
		.amdhsa_exception_fp_ieee_invalid_op 0
		.amdhsa_exception_fp_denorm_src 0
		.amdhsa_exception_fp_ieee_div_zero 0
		.amdhsa_exception_fp_ieee_overflow 0
		.amdhsa_exception_fp_ieee_underflow 0
		.amdhsa_exception_fp_ieee_inexact 0
		.amdhsa_exception_int_div_zero 0
	.end_amdhsa_kernel
	.section	.text._Z11fill_kernelI17hipblaslt_f8_fnuzZ21hipblaslt_init_deviceIS0_Ev8ABC_dims24hipblaslt_initializationbPT_mmmmmEUlmE9_EvS5_mmT0_,"axG",@progbits,_Z11fill_kernelI17hipblaslt_f8_fnuzZ21hipblaslt_init_deviceIS0_Ev8ABC_dims24hipblaslt_initializationbPT_mmmmmEUlmE9_EvS5_mmT0_,comdat
.Lfunc_end54:
	.size	_Z11fill_kernelI17hipblaslt_f8_fnuzZ21hipblaslt_init_deviceIS0_Ev8ABC_dims24hipblaslt_initializationbPT_mmmmmEUlmE9_EvS5_mmT0_, .Lfunc_end54-_Z11fill_kernelI17hipblaslt_f8_fnuzZ21hipblaslt_init_deviceIS0_Ev8ABC_dims24hipblaslt_initializationbPT_mmmmmEUlmE9_EvS5_mmT0_
                                        ; -- End function
	.section	.AMDGPU.csdata,"",@progbits
; Kernel info:
; codeLenInByte = 2080
; NumSgprs: 18
; NumVgprs: 17
; ScratchSize: 0
; MemoryBound: 0
; FloatMode: 240
; IeeeMode: 1
; LDSByteSize: 0 bytes/workgroup (compile time only)
; SGPRBlocks: 2
; VGPRBlocks: 2
; NumSGPRsForWavesPerEU: 18
; NumVGPRsForWavesPerEU: 17
; Occupancy: 16
; WaveLimiterHint : 0
; COMPUTE_PGM_RSRC2:SCRATCH_EN: 0
; COMPUTE_PGM_RSRC2:USER_SGPR: 15
; COMPUTE_PGM_RSRC2:TRAP_HANDLER: 0
; COMPUTE_PGM_RSRC2:TGID_X_EN: 1
; COMPUTE_PGM_RSRC2:TGID_Y_EN: 0
; COMPUTE_PGM_RSRC2:TGID_Z_EN: 0
; COMPUTE_PGM_RSRC2:TIDIG_COMP_CNT: 0
	.section	.text._Z11fill_kernelI18hipblaslt_bf8_fnuzZ21hipblaslt_init_deviceIS0_Ev8ABC_dims24hipblaslt_initializationbPT_mmmmmEUlmE_EvS5_mmT0_,"axG",@progbits,_Z11fill_kernelI18hipblaslt_bf8_fnuzZ21hipblaslt_init_deviceIS0_Ev8ABC_dims24hipblaslt_initializationbPT_mmmmmEUlmE_EvS5_mmT0_,comdat
	.protected	_Z11fill_kernelI18hipblaslt_bf8_fnuzZ21hipblaslt_init_deviceIS0_Ev8ABC_dims24hipblaslt_initializationbPT_mmmmmEUlmE_EvS5_mmT0_ ; -- Begin function _Z11fill_kernelI18hipblaslt_bf8_fnuzZ21hipblaslt_init_deviceIS0_Ev8ABC_dims24hipblaslt_initializationbPT_mmmmmEUlmE_EvS5_mmT0_
	.globl	_Z11fill_kernelI18hipblaslt_bf8_fnuzZ21hipblaslt_init_deviceIS0_Ev8ABC_dims24hipblaslt_initializationbPT_mmmmmEUlmE_EvS5_mmT0_
	.p2align	8
	.type	_Z11fill_kernelI18hipblaslt_bf8_fnuzZ21hipblaslt_init_deviceIS0_Ev8ABC_dims24hipblaslt_initializationbPT_mmmmmEUlmE_EvS5_mmT0_,@function
_Z11fill_kernelI18hipblaslt_bf8_fnuzZ21hipblaslt_init_deviceIS0_Ev8ABC_dims24hipblaslt_initializationbPT_mmmmmEUlmE_EvS5_mmT0_: ; @_Z11fill_kernelI18hipblaslt_bf8_fnuzZ21hipblaslt_init_deviceIS0_Ev8ABC_dims24hipblaslt_initializationbPT_mmmmmEUlmE_EvS5_mmT0_
; %bb.0:
	s_clause 0x1
	s_load_b32 s2, s[0:1], 0x8c
	s_load_b128 s[4:7], s[0:1], 0x0
	s_waitcnt lgkmcnt(0)
	s_and_b32 s2, s2, 0xffff
	s_delay_alu instid0(SALU_CYCLE_1) | instskip(SKIP_2) | instid1(VALU_DEP_1)
	v_mad_u64_u32 v[1:2], null, s15, s2, v[0:1]
	v_mov_b32_e32 v2, 0
	s_mov_b32 s2, exec_lo
	v_cmpx_gt_u64_e64 s[6:7], v[1:2]
	s_cbranch_execz .LBB55_2
; %bb.1:
	s_load_b64 s[2:3], s[0:1], 0x10
	s_mov_b32 s6, 0x19660d
	s_waitcnt lgkmcnt(0)
	v_add_co_u32 v4, s2, v1, s2
	s_delay_alu instid0(VALU_DEP_1) | instskip(NEXT) | instid1(VALU_DEP_2)
	v_add_co_ci_u32_e64 v5, null, 0, s3, s2
	v_mad_u64_u32 v[0:1], null, v4, s6, 0x3c6ef35f
	s_delay_alu instid0(VALU_DEP_1) | instskip(NEXT) | instid1(VALU_DEP_1)
	v_mad_u64_u32 v[2:3], null, 0x19660d, v5, v[1:2]
	v_mov_b32_e32 v1, v2
	s_delay_alu instid0(VALU_DEP_1) | instskip(NEXT) | instid1(VALU_DEP_1)
	v_lshlrev_b64 v[2:3], 13, v[0:1]
	v_xor_b32_e32 v1, v3, v1
	s_delay_alu instid0(VALU_DEP_2) | instskip(NEXT) | instid1(VALU_DEP_1)
	v_xor_b32_e32 v0, v2, v0
	v_lshrrev_b64 v[2:3], 17, v[0:1]
	s_delay_alu instid0(VALU_DEP_1) | instskip(NEXT) | instid1(VALU_DEP_2)
	v_xor_b32_e32 v1, v3, v1
	v_xor_b32_e32 v0, v2, v0
	s_delay_alu instid0(VALU_DEP_1) | instskip(NEXT) | instid1(VALU_DEP_1)
	v_lshlrev_b64 v[2:3], 5, v[0:1]
	v_xor_b32_e32 v1, v3, v1
	s_delay_alu instid0(VALU_DEP_2) | instskip(NEXT) | instid1(VALU_DEP_1)
	v_xor_b32_e32 v0, v2, v0
	v_lshlrev_b64 v[2:3], 13, v[0:1]
	s_delay_alu instid0(VALU_DEP_1) | instskip(NEXT) | instid1(VALU_DEP_2)
	v_xor_b32_e32 v1, v3, v1
	v_xor_b32_e32 v0, v2, v0
	s_delay_alu instid0(VALU_DEP_1) | instskip(NEXT) | instid1(VALU_DEP_1)
	v_lshrrev_b64 v[2:3], 17, v[0:1]
	v_xor_b32_e32 v1, v3, v1
	s_delay_alu instid0(VALU_DEP_2) | instskip(NEXT) | instid1(VALU_DEP_1)
	v_xor_b32_e32 v0, v2, v0
	v_lshlrev_b64 v[2:3], 5, v[0:1]
	s_delay_alu instid0(VALU_DEP_1) | instskip(NEXT) | instid1(VALU_DEP_2)
	v_xor_b32_e32 v1, v3, v1
	v_xor_b32_e32 v0, v2, v0
	s_delay_alu instid0(VALU_DEP_1) | instskip(NEXT) | instid1(VALU_DEP_1)
	v_lshlrev_b64 v[2:3], 13, v[0:1]
	v_xor_b32_e32 v1, v3, v1
	s_delay_alu instid0(VALU_DEP_2) | instskip(NEXT) | instid1(VALU_DEP_1)
	v_xor_b32_e32 v0, v2, v0
	v_alignbit_b32 v1, v1, v0, 17
	s_delay_alu instid0(VALU_DEP_1) | instskip(NEXT) | instid1(VALU_DEP_1)
	v_xor_b32_e32 v0, v1, v0
	v_lshlrev_b32_e32 v1, 5, v0
	s_delay_alu instid0(VALU_DEP_1) | instskip(NEXT) | instid1(VALU_DEP_1)
	v_xor_b32_e32 v0, v1, v0
	v_mul_hi_u32 v1, 0x51eb851f, v0
	s_delay_alu instid0(VALU_DEP_1) | instskip(NEXT) | instid1(VALU_DEP_1)
	v_lshrrev_b32_e32 v1, 5, v1
	v_mul_lo_u32 v1, 0x64, v1
	s_delay_alu instid0(VALU_DEP_1)
	v_sub_nc_u32_e32 v0, v0, v1
	global_load_u8 v2, v0, s[0:1] offset:24
	v_add_co_u32 v0, vcc_lo, s4, v4
	v_add_co_ci_u32_e32 v1, vcc_lo, s5, v5, vcc_lo
	s_waitcnt vmcnt(0)
	global_store_b8 v[0:1], v2, off
.LBB55_2:
	s_nop 0
	s_sendmsg sendmsg(MSG_DEALLOC_VGPRS)
	s_endpgm
	.section	.rodata,"a",@progbits
	.p2align	6, 0x0
	.amdhsa_kernel _Z11fill_kernelI18hipblaslt_bf8_fnuzZ21hipblaslt_init_deviceIS0_Ev8ABC_dims24hipblaslt_initializationbPT_mmmmmEUlmE_EvS5_mmT0_
		.amdhsa_group_segment_fixed_size 0
		.amdhsa_private_segment_fixed_size 0
		.amdhsa_kernarg_size 384
		.amdhsa_user_sgpr_count 15
		.amdhsa_user_sgpr_dispatch_ptr 0
		.amdhsa_user_sgpr_queue_ptr 0
		.amdhsa_user_sgpr_kernarg_segment_ptr 1
		.amdhsa_user_sgpr_dispatch_id 0
		.amdhsa_user_sgpr_private_segment_size 0
		.amdhsa_wavefront_size32 1
		.amdhsa_uses_dynamic_stack 0
		.amdhsa_enable_private_segment 0
		.amdhsa_system_sgpr_workgroup_id_x 1
		.amdhsa_system_sgpr_workgroup_id_y 0
		.amdhsa_system_sgpr_workgroup_id_z 0
		.amdhsa_system_sgpr_workgroup_info 0
		.amdhsa_system_vgpr_workitem_id 0
		.amdhsa_next_free_vgpr 6
		.amdhsa_next_free_sgpr 16
		.amdhsa_reserve_vcc 1
		.amdhsa_float_round_mode_32 0
		.amdhsa_float_round_mode_16_64 0
		.amdhsa_float_denorm_mode_32 3
		.amdhsa_float_denorm_mode_16_64 3
		.amdhsa_dx10_clamp 1
		.amdhsa_ieee_mode 1
		.amdhsa_fp16_overflow 0
		.amdhsa_workgroup_processor_mode 1
		.amdhsa_memory_ordered 1
		.amdhsa_forward_progress 0
		.amdhsa_shared_vgpr_count 0
		.amdhsa_exception_fp_ieee_invalid_op 0
		.amdhsa_exception_fp_denorm_src 0
		.amdhsa_exception_fp_ieee_div_zero 0
		.amdhsa_exception_fp_ieee_overflow 0
		.amdhsa_exception_fp_ieee_underflow 0
		.amdhsa_exception_fp_ieee_inexact 0
		.amdhsa_exception_int_div_zero 0
	.end_amdhsa_kernel
	.section	.text._Z11fill_kernelI18hipblaslt_bf8_fnuzZ21hipblaslt_init_deviceIS0_Ev8ABC_dims24hipblaslt_initializationbPT_mmmmmEUlmE_EvS5_mmT0_,"axG",@progbits,_Z11fill_kernelI18hipblaslt_bf8_fnuzZ21hipblaslt_init_deviceIS0_Ev8ABC_dims24hipblaslt_initializationbPT_mmmmmEUlmE_EvS5_mmT0_,comdat
.Lfunc_end55:
	.size	_Z11fill_kernelI18hipblaslt_bf8_fnuzZ21hipblaslt_init_deviceIS0_Ev8ABC_dims24hipblaslt_initializationbPT_mmmmmEUlmE_EvS5_mmT0_, .Lfunc_end55-_Z11fill_kernelI18hipblaslt_bf8_fnuzZ21hipblaslt_init_deviceIS0_Ev8ABC_dims24hipblaslt_initializationbPT_mmmmmEUlmE_EvS5_mmT0_
                                        ; -- End function
	.section	.AMDGPU.csdata,"",@progbits
; Kernel info:
; codeLenInByte = 404
; NumSgprs: 18
; NumVgprs: 6
; ScratchSize: 0
; MemoryBound: 0
; FloatMode: 240
; IeeeMode: 1
; LDSByteSize: 0 bytes/workgroup (compile time only)
; SGPRBlocks: 2
; VGPRBlocks: 0
; NumSGPRsForWavesPerEU: 18
; NumVGPRsForWavesPerEU: 6
; Occupancy: 16
; WaveLimiterHint : 0
; COMPUTE_PGM_RSRC2:SCRATCH_EN: 0
; COMPUTE_PGM_RSRC2:USER_SGPR: 15
; COMPUTE_PGM_RSRC2:TRAP_HANDLER: 0
; COMPUTE_PGM_RSRC2:TGID_X_EN: 1
; COMPUTE_PGM_RSRC2:TGID_Y_EN: 0
; COMPUTE_PGM_RSRC2:TGID_Z_EN: 0
; COMPUTE_PGM_RSRC2:TIDIG_COMP_CNT: 0
	.section	.text._Z11fill_kernelI18hipblaslt_bf8_fnuzZ21hipblaslt_init_deviceIS0_Ev8ABC_dims24hipblaslt_initializationbPT_mmmmmEUlmE0_EvS5_mmT0_,"axG",@progbits,_Z11fill_kernelI18hipblaslt_bf8_fnuzZ21hipblaslt_init_deviceIS0_Ev8ABC_dims24hipblaslt_initializationbPT_mmmmmEUlmE0_EvS5_mmT0_,comdat
	.protected	_Z11fill_kernelI18hipblaslt_bf8_fnuzZ21hipblaslt_init_deviceIS0_Ev8ABC_dims24hipblaslt_initializationbPT_mmmmmEUlmE0_EvS5_mmT0_ ; -- Begin function _Z11fill_kernelI18hipblaslt_bf8_fnuzZ21hipblaslt_init_deviceIS0_Ev8ABC_dims24hipblaslt_initializationbPT_mmmmmEUlmE0_EvS5_mmT0_
	.globl	_Z11fill_kernelI18hipblaslt_bf8_fnuzZ21hipblaslt_init_deviceIS0_Ev8ABC_dims24hipblaslt_initializationbPT_mmmmmEUlmE0_EvS5_mmT0_
	.p2align	8
	.type	_Z11fill_kernelI18hipblaslt_bf8_fnuzZ21hipblaslt_init_deviceIS0_Ev8ABC_dims24hipblaslt_initializationbPT_mmmmmEUlmE0_EvS5_mmT0_,@function
_Z11fill_kernelI18hipblaslt_bf8_fnuzZ21hipblaslt_init_deviceIS0_Ev8ABC_dims24hipblaslt_initializationbPT_mmmmmEUlmE0_EvS5_mmT0_: ; @_Z11fill_kernelI18hipblaslt_bf8_fnuzZ21hipblaslt_init_deviceIS0_Ev8ABC_dims24hipblaslt_initializationbPT_mmmmmEUlmE0_EvS5_mmT0_
; %bb.0:
	s_clause 0x1
	s_load_b32 s2, s[0:1], 0x2c
	s_load_b128 s[4:7], s[0:1], 0x0
	s_waitcnt lgkmcnt(0)
	s_and_b32 s2, s2, 0xffff
	s_delay_alu instid0(SALU_CYCLE_1) | instskip(SKIP_2) | instid1(VALU_DEP_1)
	v_mad_u64_u32 v[1:2], null, s15, s2, v[0:1]
	v_mov_b32_e32 v2, 0
	s_mov_b32 s2, exec_lo
	v_cmpx_gt_u64_e64 s[6:7], v[1:2]
	s_cbranch_execz .LBB56_8
; %bb.1:
	s_load_b64 s[0:1], s[0:1], 0x10
	s_mov_b32 s2, 0x19660d
	s_waitcnt lgkmcnt(0)
	v_add_co_u32 v4, s0, v1, s0
	s_delay_alu instid0(VALU_DEP_1) | instskip(NEXT) | instid1(VALU_DEP_2)
	v_add_co_ci_u32_e64 v5, null, 0, s1, s0
	v_mad_u64_u32 v[0:1], null, v4, s2, 0x3c6ef35f
	s_delay_alu instid0(VALU_DEP_1) | instskip(NEXT) | instid1(VALU_DEP_1)
	v_mad_u64_u32 v[6:7], null, 0x19660d, v5, v[1:2]
	v_mov_b32_e32 v1, v6
	s_delay_alu instid0(VALU_DEP_1) | instskip(NEXT) | instid1(VALU_DEP_1)
	v_lshlrev_b64 v[6:7], 13, v[0:1]
	v_xor_b32_e32 v1, v7, v1
	s_delay_alu instid0(VALU_DEP_2) | instskip(NEXT) | instid1(VALU_DEP_1)
	v_xor_b32_e32 v0, v6, v0
	v_lshrrev_b64 v[6:7], 17, v[0:1]
	s_delay_alu instid0(VALU_DEP_1) | instskip(NEXT) | instid1(VALU_DEP_2)
	v_xor_b32_e32 v1, v7, v1
	v_xor_b32_e32 v0, v6, v0
	s_delay_alu instid0(VALU_DEP_1) | instskip(NEXT) | instid1(VALU_DEP_1)
	v_lshlrev_b64 v[6:7], 5, v[0:1]
	v_xor_b32_e32 v1, v7, v1
	s_delay_alu instid0(VALU_DEP_2) | instskip(NEXT) | instid1(VALU_DEP_1)
	v_xor_b32_e32 v0, v6, v0
	v_lshlrev_b64 v[6:7], 13, v[0:1]
	s_delay_alu instid0(VALU_DEP_1) | instskip(NEXT) | instid1(VALU_DEP_2)
	v_xor_b32_e32 v1, v7, v1
	v_xor_b32_e32 v0, v6, v0
	s_delay_alu instid0(VALU_DEP_1) | instskip(NEXT) | instid1(VALU_DEP_1)
	v_lshrrev_b64 v[6:7], 17, v[0:1]
	v_xor_b32_e32 v1, v7, v1
	s_delay_alu instid0(VALU_DEP_2) | instskip(NEXT) | instid1(VALU_DEP_1)
	v_xor_b32_e32 v0, v6, v0
	v_lshlrev_b64 v[6:7], 5, v[0:1]
	s_delay_alu instid0(VALU_DEP_1) | instskip(NEXT) | instid1(VALU_DEP_2)
	v_xor_b32_e32 v1, v7, v1
	v_xor_b32_e32 v0, v6, v0
	s_delay_alu instid0(VALU_DEP_1) | instskip(NEXT) | instid1(VALU_DEP_1)
	v_lshlrev_b64 v[6:7], 13, v[0:1]
	v_xor_b32_e32 v1, v7, v1
	s_delay_alu instid0(VALU_DEP_2) | instskip(NEXT) | instid1(VALU_DEP_1)
	v_xor_b32_e32 v0, v6, v0
	v_alignbit_b32 v1, v1, v0, 17
	s_delay_alu instid0(VALU_DEP_1) | instskip(NEXT) | instid1(VALU_DEP_1)
	v_xor_b32_e32 v0, v1, v0
	v_lshlrev_b32_e32 v1, 5, v0
	s_delay_alu instid0(VALU_DEP_1) | instskip(NEXT) | instid1(VALU_DEP_1)
	v_xor_b32_e32 v0, v1, v0
	v_mul_hi_u32 v1, 0xcccccccd, v0
	s_delay_alu instid0(VALU_DEP_1) | instskip(NEXT) | instid1(VALU_DEP_1)
	v_lshrrev_b32_e32 v1, 3, v1
	v_mul_lo_u32 v1, v1, 10
	s_delay_alu instid0(VALU_DEP_1) | instskip(NEXT) | instid1(VALU_DEP_1)
	v_sub_nc_u32_e32 v0, v0, v1
	v_add_nc_u32_e32 v0, 1, v0
	s_delay_alu instid0(VALU_DEP_1) | instskip(NEXT) | instid1(VALU_DEP_1)
	v_cvt_f32_u32_e32 v0, v0
	v_and_b32_e32 v1, 0x7f800000, v0
	v_cmp_gt_u32_e64 s0, 0x47600001, v0
	s_delay_alu instid0(VALU_DEP_2) | instskip(SKIP_1) | instid1(VALU_DEP_3)
	v_cmp_ne_u64_e32 vcc_lo, 0x7f800000, v[1:2]
	v_mov_b32_e32 v1, 0x7f
	s_and_b32 s0, s0, vcc_lo
	s_delay_alu instid0(SALU_CYCLE_1)
	s_and_saveexec_b32 s2, s0
	s_cbranch_execz .LBB56_7
; %bb.2:
	v_lshrrev_b32_e32 v10, 23, v0
	v_cmp_gt_u32_e32 vcc_lo, 0x800000, v0
	v_and_b32_e32 v2, 0x7fffff, v0
	s_delay_alu instid0(VALU_DEP_3) | instskip(SKIP_1) | instid1(VALU_DEP_2)
	v_sub_nc_u32_e64 v1, 0x70, v10 clamp
	v_add_nc_u32_e32 v10, 0xffffff91, v10
	v_cndmask_b32_e64 v11, v1, 0x6f, vcc_lo
	v_mov_b32_e32 v1, 0
	v_or_b32_e32 v0, 0x800000, v2
	s_delay_alu instid0(VALU_DEP_3) | instskip(SKIP_1) | instid1(VALU_DEP_3)
	v_add_nc_u32_e32 v3, 21, v11
	v_add_nc_u32_e32 v6, 20, v11
	v_cndmask_b32_e32 v0, v0, v2, vcc_lo
	s_delay_alu instid0(VALU_DEP_3) | instskip(SKIP_1) | instid1(VALU_DEP_3)
	v_lshlrev_b64 v[2:3], v3, -1
	v_mov_b32_e32 v3, v1
	v_lshrrev_b64 v[8:9], v11, v[0:1]
	v_lshlrev_b64 v[6:7], v6, 1
	s_delay_alu instid0(VALU_DEP_4) | instskip(NEXT) | instid1(VALU_DEP_1)
	v_not_b32_e32 v2, v2
	v_and_b32_e32 v2, v0, v2
	s_delay_alu instid0(VALU_DEP_4) | instskip(NEXT) | instid1(VALU_DEP_2)
	v_and_b32_e32 v0, 0x200000, v8
	v_cmp_eq_u64_e64 s0, v[2:3], v[6:7]
	s_delay_alu instid0(VALU_DEP_2) | instskip(SKIP_2) | instid1(VALU_DEP_3)
	v_cmp_eq_u64_e64 s1, 0, v[0:1]
	v_cndmask_b32_e64 v0, v10, 0xffffff92, vcc_lo
	v_lshrrev_b32_e32 v2, 23, v8
	s_and_b32 vcc_lo, s1, s0
	s_delay_alu instid0(VALU_DEP_1) | instskip(SKIP_2) | instid1(VALU_DEP_2)
	v_add3_u32 v6, v0, v11, v2
	v_subrev_co_ci_u32_e32 v3, vcc_lo, 0, v8, vcc_lo
	s_mov_b32 s0, exec_lo
	v_add_nc_u32_e32 v7, -1, v6
	s_delay_alu instid0(VALU_DEP_2) | instskip(NEXT) | instid1(VALU_DEP_1)
	v_and_b32_e32 v0, 0x1fffff, v3
	v_add_co_u32 v2, vcc_lo, v0, v8
	v_add_co_ci_u32_e32 v3, vcc_lo, 0, v9, vcc_lo
                                        ; implicit-def: $vgpr0
	s_delay_alu instid0(VALU_DEP_4)
	v_cmpx_ne_u32_e32 0, v7
	s_xor_b32 s0, exec_lo, s0
; %bb.3:
	s_delay_alu instid0(VALU_DEP_3) | instskip(SKIP_1) | instid1(VALU_DEP_2)
	v_and_b32_e32 v0, 0x1000000, v2
	v_bfe_u32 v8, v2, 24, 1
	v_cmp_eq_u64_e32 vcc_lo, 0, v[0:1]
	s_delay_alu instid0(VALU_DEP_2)
	v_lshrrev_b64 v[2:3], v8, v[2:3]
	v_cndmask_b32_e32 v0, v6, v7, vcc_lo
; %bb.4:
	s_and_not1_saveexec_b32 s0, s0
; %bb.5:
	s_delay_alu instid0(VALU_DEP_2)
	v_bfe_u32 v0, v2, 23, 1
; %bb.6:
	s_or_b32 exec_lo, exec_lo, s0
	s_delay_alu instid0(VALU_DEP_3) | instskip(NEXT) | instid1(VALU_DEP_2)
	v_lshrrev_b64 v[1:2], 21, v[2:3]
	v_cmp_gt_i32_e32 vcc_lo, 32, v0
	v_min_i32_e32 v3, 31, v0
	v_cmp_eq_u32_e64 s0, 0, v0
	s_delay_alu instid0(VALU_DEP_4) | instskip(NEXT) | instid1(VALU_DEP_3)
	v_dual_cndmask_b32 v2, 0, v2 :: v_dual_cndmask_b32 v1, 3, v1
	v_lshlrev_b32_e32 v3, 2, v3
	s_delay_alu instid0(VALU_DEP_2) | instskip(NEXT) | instid1(VALU_DEP_2)
	v_cmp_eq_u64_e32 vcc_lo, 0, v[1:2]
	v_and_or_b32 v0, v1, 3, v3
	s_and_b32 s0, s0, vcc_lo
	s_delay_alu instid0(VALU_DEP_1) | instid1(SALU_CYCLE_1)
	v_cndmask_b32_e64 v1, v0, 0, s0
.LBB56_7:
	s_or_b32 exec_lo, exec_lo, s2
	v_add_co_u32 v2, vcc_lo, s4, v4
	v_add_co_ci_u32_e32 v3, vcc_lo, s5, v5, vcc_lo
	global_store_b8 v[2:3], v1, off
.LBB56_8:
	s_nop 0
	s_sendmsg sendmsg(MSG_DEALLOC_VGPRS)
	s_endpgm
	.section	.rodata,"a",@progbits
	.p2align	6, 0x0
	.amdhsa_kernel _Z11fill_kernelI18hipblaslt_bf8_fnuzZ21hipblaslt_init_deviceIS0_Ev8ABC_dims24hipblaslt_initializationbPT_mmmmmEUlmE0_EvS5_mmT0_
		.amdhsa_group_segment_fixed_size 0
		.amdhsa_private_segment_fixed_size 0
		.amdhsa_kernarg_size 288
		.amdhsa_user_sgpr_count 15
		.amdhsa_user_sgpr_dispatch_ptr 0
		.amdhsa_user_sgpr_queue_ptr 0
		.amdhsa_user_sgpr_kernarg_segment_ptr 1
		.amdhsa_user_sgpr_dispatch_id 0
		.amdhsa_user_sgpr_private_segment_size 0
		.amdhsa_wavefront_size32 1
		.amdhsa_uses_dynamic_stack 0
		.amdhsa_enable_private_segment 0
		.amdhsa_system_sgpr_workgroup_id_x 1
		.amdhsa_system_sgpr_workgroup_id_y 0
		.amdhsa_system_sgpr_workgroup_id_z 0
		.amdhsa_system_sgpr_workgroup_info 0
		.amdhsa_system_vgpr_workitem_id 0
		.amdhsa_next_free_vgpr 12
		.amdhsa_next_free_sgpr 16
		.amdhsa_reserve_vcc 1
		.amdhsa_float_round_mode_32 0
		.amdhsa_float_round_mode_16_64 0
		.amdhsa_float_denorm_mode_32 3
		.amdhsa_float_denorm_mode_16_64 3
		.amdhsa_dx10_clamp 1
		.amdhsa_ieee_mode 1
		.amdhsa_fp16_overflow 0
		.amdhsa_workgroup_processor_mode 1
		.amdhsa_memory_ordered 1
		.amdhsa_forward_progress 0
		.amdhsa_shared_vgpr_count 0
		.amdhsa_exception_fp_ieee_invalid_op 0
		.amdhsa_exception_fp_denorm_src 0
		.amdhsa_exception_fp_ieee_div_zero 0
		.amdhsa_exception_fp_ieee_overflow 0
		.amdhsa_exception_fp_ieee_underflow 0
		.amdhsa_exception_fp_ieee_inexact 0
		.amdhsa_exception_int_div_zero 0
	.end_amdhsa_kernel
	.section	.text._Z11fill_kernelI18hipblaslt_bf8_fnuzZ21hipblaslt_init_deviceIS0_Ev8ABC_dims24hipblaslt_initializationbPT_mmmmmEUlmE0_EvS5_mmT0_,"axG",@progbits,_Z11fill_kernelI18hipblaslt_bf8_fnuzZ21hipblaslt_init_deviceIS0_Ev8ABC_dims24hipblaslt_initializationbPT_mmmmmEUlmE0_EvS5_mmT0_,comdat
.Lfunc_end56:
	.size	_Z11fill_kernelI18hipblaslt_bf8_fnuzZ21hipblaslt_init_deviceIS0_Ev8ABC_dims24hipblaslt_initializationbPT_mmmmmEUlmE0_EvS5_mmT0_, .Lfunc_end56-_Z11fill_kernelI18hipblaslt_bf8_fnuzZ21hipblaslt_init_deviceIS0_Ev8ABC_dims24hipblaslt_initializationbPT_mmmmmEUlmE0_EvS5_mmT0_
                                        ; -- End function
	.section	.AMDGPU.csdata,"",@progbits
; Kernel info:
; codeLenInByte = 836
; NumSgprs: 18
; NumVgprs: 12
; ScratchSize: 0
; MemoryBound: 0
; FloatMode: 240
; IeeeMode: 1
; LDSByteSize: 0 bytes/workgroup (compile time only)
; SGPRBlocks: 2
; VGPRBlocks: 1
; NumSGPRsForWavesPerEU: 18
; NumVGPRsForWavesPerEU: 12
; Occupancy: 16
; WaveLimiterHint : 0
; COMPUTE_PGM_RSRC2:SCRATCH_EN: 0
; COMPUTE_PGM_RSRC2:USER_SGPR: 15
; COMPUTE_PGM_RSRC2:TRAP_HANDLER: 0
; COMPUTE_PGM_RSRC2:TGID_X_EN: 1
; COMPUTE_PGM_RSRC2:TGID_Y_EN: 0
; COMPUTE_PGM_RSRC2:TGID_Z_EN: 0
; COMPUTE_PGM_RSRC2:TIDIG_COMP_CNT: 0
	.section	.text._Z11fill_kernelI18hipblaslt_bf8_fnuzZ21hipblaslt_init_deviceIS0_Ev8ABC_dims24hipblaslt_initializationbPT_mmmmmEUlmE1_EvS5_mmT0_,"axG",@progbits,_Z11fill_kernelI18hipblaslt_bf8_fnuzZ21hipblaslt_init_deviceIS0_Ev8ABC_dims24hipblaslt_initializationbPT_mmmmmEUlmE1_EvS5_mmT0_,comdat
	.protected	_Z11fill_kernelI18hipblaslt_bf8_fnuzZ21hipblaslt_init_deviceIS0_Ev8ABC_dims24hipblaslt_initializationbPT_mmmmmEUlmE1_EvS5_mmT0_ ; -- Begin function _Z11fill_kernelI18hipblaslt_bf8_fnuzZ21hipblaslt_init_deviceIS0_Ev8ABC_dims24hipblaslt_initializationbPT_mmmmmEUlmE1_EvS5_mmT0_
	.globl	_Z11fill_kernelI18hipblaslt_bf8_fnuzZ21hipblaslt_init_deviceIS0_Ev8ABC_dims24hipblaslt_initializationbPT_mmmmmEUlmE1_EvS5_mmT0_
	.p2align	8
	.type	_Z11fill_kernelI18hipblaslt_bf8_fnuzZ21hipblaslt_init_deviceIS0_Ev8ABC_dims24hipblaslt_initializationbPT_mmmmmEUlmE1_EvS5_mmT0_,@function
_Z11fill_kernelI18hipblaslt_bf8_fnuzZ21hipblaslt_init_deviceIS0_Ev8ABC_dims24hipblaslt_initializationbPT_mmmmmEUlmE1_EvS5_mmT0_: ; @_Z11fill_kernelI18hipblaslt_bf8_fnuzZ21hipblaslt_init_deviceIS0_Ev8ABC_dims24hipblaslt_initializationbPT_mmmmmEUlmE1_EvS5_mmT0_
; %bb.0:
	s_clause 0x1
	s_load_b32 s2, s[0:1], 0x34
	s_load_b256 s[4:11], s[0:1], 0x0
	s_waitcnt lgkmcnt(0)
	s_and_b32 s2, s2, 0xffff
	s_delay_alu instid0(SALU_CYCLE_1) | instskip(SKIP_2) | instid1(VALU_DEP_1)
	v_mad_u64_u32 v[1:2], null, s15, s2, v[0:1]
	v_mov_b32_e32 v2, 0
	s_mov_b32 s2, exec_lo
	v_cmpx_gt_u64_e64 s[6:7], v[1:2]
	s_cbranch_execz .LBB57_16
; %bb.1:
	v_add_co_u32 v4, s2, v1, s8
	s_delay_alu instid0(VALU_DEP_1)
	v_add_co_ci_u32_e64 v5, null, 0, s9, s2
	s_mov_b32 s2, 0x19660d
	s_delay_alu instid0(VALU_DEP_2) | instid1(SALU_CYCLE_1)
	v_mad_u64_u32 v[0:1], null, v4, s2, 0x3c6ef35f
	s_load_b64 s[2:3], s[0:1], 0x20
	s_delay_alu instid0(VALU_DEP_1) | instskip(NEXT) | instid1(VALU_DEP_1)
	v_mad_u64_u32 v[6:7], null, 0x19660d, v5, v[1:2]
	v_mov_b32_e32 v1, v6
	s_delay_alu instid0(VALU_DEP_1) | instskip(NEXT) | instid1(VALU_DEP_1)
	v_lshlrev_b64 v[6:7], 13, v[0:1]
	v_xor_b32_e32 v1, v7, v1
	s_delay_alu instid0(VALU_DEP_2) | instskip(NEXT) | instid1(VALU_DEP_1)
	v_xor_b32_e32 v0, v6, v0
	v_lshrrev_b64 v[6:7], 17, v[0:1]
	s_delay_alu instid0(VALU_DEP_1) | instskip(NEXT) | instid1(VALU_DEP_2)
	v_xor_b32_e32 v1, v7, v1
	v_xor_b32_e32 v0, v6, v0
	s_delay_alu instid0(VALU_DEP_1) | instskip(NEXT) | instid1(VALU_DEP_1)
	v_lshlrev_b64 v[6:7], 5, v[0:1]
	v_xor_b32_e32 v1, v7, v1
	s_delay_alu instid0(VALU_DEP_2) | instskip(NEXT) | instid1(VALU_DEP_1)
	v_xor_b32_e32 v0, v6, v0
	v_lshlrev_b64 v[6:7], 13, v[0:1]
	s_delay_alu instid0(VALU_DEP_1) | instskip(NEXT) | instid1(VALU_DEP_2)
	v_xor_b32_e32 v1, v7, v1
	v_xor_b32_e32 v0, v6, v0
	s_delay_alu instid0(VALU_DEP_1) | instskip(NEXT) | instid1(VALU_DEP_1)
	v_lshrrev_b64 v[6:7], 17, v[0:1]
	v_xor_b32_e32 v1, v7, v1
	s_delay_alu instid0(VALU_DEP_2) | instskip(NEXT) | instid1(VALU_DEP_1)
	v_xor_b32_e32 v0, v6, v0
	v_lshlrev_b64 v[6:7], 5, v[0:1]
	s_delay_alu instid0(VALU_DEP_1) | instskip(NEXT) | instid1(VALU_DEP_2)
	v_xor_b32_e32 v1, v7, v1
	v_xor_b32_e32 v0, v6, v0
	s_delay_alu instid0(VALU_DEP_1) | instskip(NEXT) | instid1(VALU_DEP_1)
	v_lshlrev_b64 v[6:7], 13, v[0:1]
	v_xor_b32_e32 v1, v7, v1
	s_delay_alu instid0(VALU_DEP_2) | instskip(SKIP_1) | instid1(VALU_DEP_2)
	v_xor_b32_e32 v0, v6, v0
	v_mov_b32_e32 v6, 0x7f
	v_alignbit_b32 v1, v1, v0, 17
	s_delay_alu instid0(VALU_DEP_1) | instskip(NEXT) | instid1(VALU_DEP_1)
	v_xor_b32_e32 v0, v1, v0
	v_lshlrev_b32_e32 v1, 5, v0
	s_delay_alu instid0(VALU_DEP_1) | instskip(NEXT) | instid1(VALU_DEP_1)
	v_xor_b32_e32 v0, v1, v0
	v_mul_hi_u32 v1, 0xcccccccd, v0
	s_delay_alu instid0(VALU_DEP_1) | instskip(NEXT) | instid1(VALU_DEP_1)
	v_lshrrev_b32_e32 v1, 3, v1
	v_mul_lo_u32 v1, v1, 10
	s_delay_alu instid0(VALU_DEP_1) | instskip(NEXT) | instid1(VALU_DEP_1)
	v_sub_nc_u32_e32 v0, v0, v1
	v_add_nc_u32_e32 v0, 1, v0
	s_delay_alu instid0(VALU_DEP_1) | instskip(NEXT) | instid1(VALU_DEP_1)
	v_cvt_f32_u32_e32 v0, v0
	v_and_b32_e32 v1, 0x7f800000, v0
	v_cmp_gt_u32_e64 s0, 0x47600001, v0
	s_delay_alu instid0(VALU_DEP_2) | instskip(NEXT) | instid1(VALU_DEP_2)
	v_cmp_ne_u64_e32 vcc_lo, 0x7f800000, v[1:2]
	s_and_b32 s0, s0, vcc_lo
	s_delay_alu instid0(SALU_CYCLE_1)
	s_and_saveexec_b32 s6, s0
	s_cbranch_execz .LBB57_7
; %bb.2:
	v_lshrrev_b32_e32 v10, 23, v0
	v_cmp_gt_u32_e32 vcc_lo, 0x800000, v0
	v_and_b32_e32 v2, 0x7fffff, v0
	s_delay_alu instid0(VALU_DEP_3) | instskip(SKIP_1) | instid1(VALU_DEP_2)
	v_sub_nc_u32_e64 v1, 0x70, v10 clamp
	v_add_nc_u32_e32 v10, 0xffffff91, v10
	v_cndmask_b32_e64 v11, v1, 0x6f, vcc_lo
	v_mov_b32_e32 v1, 0
	v_or_b32_e32 v0, 0x800000, v2
	s_delay_alu instid0(VALU_DEP_3) | instskip(SKIP_1) | instid1(VALU_DEP_3)
	v_add_nc_u32_e32 v3, 21, v11
	v_add_nc_u32_e32 v6, 20, v11
	v_cndmask_b32_e32 v0, v0, v2, vcc_lo
	s_delay_alu instid0(VALU_DEP_3) | instskip(SKIP_1) | instid1(VALU_DEP_3)
	v_lshlrev_b64 v[2:3], v3, -1
	v_mov_b32_e32 v3, v1
	v_lshrrev_b64 v[8:9], v11, v[0:1]
	v_lshlrev_b64 v[6:7], v6, 1
	s_delay_alu instid0(VALU_DEP_4) | instskip(NEXT) | instid1(VALU_DEP_1)
	v_not_b32_e32 v2, v2
	v_and_b32_e32 v2, v0, v2
	s_delay_alu instid0(VALU_DEP_4) | instskip(NEXT) | instid1(VALU_DEP_2)
	v_and_b32_e32 v0, 0x200000, v8
	v_cmp_eq_u64_e64 s0, v[2:3], v[6:7]
	s_delay_alu instid0(VALU_DEP_2) | instskip(SKIP_2) | instid1(VALU_DEP_3)
	v_cmp_eq_u64_e64 s1, 0, v[0:1]
	v_cndmask_b32_e64 v0, v10, 0xffffff92, vcc_lo
	v_lshrrev_b32_e32 v2, 23, v8
	s_and_b32 vcc_lo, s1, s0
	s_delay_alu instid0(VALU_DEP_1) | instskip(SKIP_2) | instid1(VALU_DEP_2)
	v_add3_u32 v6, v0, v11, v2
	v_subrev_co_ci_u32_e32 v3, vcc_lo, 0, v8, vcc_lo
	s_mov_b32 s0, exec_lo
	v_add_nc_u32_e32 v7, -1, v6
	s_delay_alu instid0(VALU_DEP_2) | instskip(NEXT) | instid1(VALU_DEP_1)
	v_and_b32_e32 v0, 0x1fffff, v3
	v_add_co_u32 v2, vcc_lo, v0, v8
	v_add_co_ci_u32_e32 v3, vcc_lo, 0, v9, vcc_lo
                                        ; implicit-def: $vgpr0
	s_delay_alu instid0(VALU_DEP_4)
	v_cmpx_ne_u32_e32 0, v7
	s_xor_b32 s0, exec_lo, s0
; %bb.3:
	s_delay_alu instid0(VALU_DEP_3) | instskip(SKIP_1) | instid1(VALU_DEP_2)
	v_and_b32_e32 v0, 0x1000000, v2
	v_bfe_u32 v8, v2, 24, 1
	v_cmp_eq_u64_e32 vcc_lo, 0, v[0:1]
	s_delay_alu instid0(VALU_DEP_2)
	v_lshrrev_b64 v[2:3], v8, v[2:3]
	v_cndmask_b32_e32 v0, v6, v7, vcc_lo
; %bb.4:
	s_and_not1_saveexec_b32 s0, s0
; %bb.5:
	s_delay_alu instid0(VALU_DEP_2)
	v_bfe_u32 v0, v2, 23, 1
; %bb.6:
	s_or_b32 exec_lo, exec_lo, s0
	s_delay_alu instid0(VALU_DEP_3) | instskip(NEXT) | instid1(VALU_DEP_2)
	v_lshrrev_b64 v[1:2], 21, v[2:3]
	v_cmp_gt_i32_e32 vcc_lo, 32, v0
	v_min_i32_e32 v3, 31, v0
	v_cmp_eq_u32_e64 s0, 0, v0
	s_delay_alu instid0(VALU_DEP_4) | instskip(NEXT) | instid1(VALU_DEP_3)
	v_dual_cndmask_b32 v2, 0, v2 :: v_dual_cndmask_b32 v1, 3, v1
	v_lshlrev_b32_e32 v3, 2, v3
	s_delay_alu instid0(VALU_DEP_2) | instskip(NEXT) | instid1(VALU_DEP_2)
	v_cmp_eq_u64_e32 vcc_lo, 0, v[1:2]
	v_and_or_b32 v0, v1, 3, v3
	s_and_b32 s0, s0, vcc_lo
	s_delay_alu instid0(VALU_DEP_1) | instid1(SALU_CYCLE_1)
	v_cndmask_b32_e64 v6, v0, 0, s0
.LBB57_7:
	s_or_b32 exec_lo, exec_lo, s6
	v_or_b32_e32 v1, s11, v5
	v_mov_b32_e32 v0, 0
	s_delay_alu instid0(VALU_DEP_1) | instskip(SKIP_1) | instid1(SALU_CYCLE_1)
	v_cmp_ne_u64_e32 vcc_lo, 0, v[0:1]
                                        ; implicit-def: $vgpr0_vgpr1
	s_and_saveexec_b32 s0, vcc_lo
	s_xor_b32 s1, exec_lo, s0
	s_cbranch_execz .LBB57_9
; %bb.8:
	v_cvt_f32_u32_e32 v0, s10
	v_cvt_f32_u32_e32 v1, s11
	s_sub_u32 s0, 0, s10
	s_subb_u32 s6, 0, s11
	s_delay_alu instid0(VALU_DEP_1) | instskip(NEXT) | instid1(VALU_DEP_1)
	v_fmamk_f32 v0, v1, 0x4f800000, v0
	v_rcp_f32_e32 v0, v0
	s_waitcnt_depctr 0xfff
	v_mul_f32_e32 v0, 0x5f7ffffc, v0
	s_delay_alu instid0(VALU_DEP_1) | instskip(NEXT) | instid1(VALU_DEP_1)
	v_mul_f32_e32 v1, 0x2f800000, v0
	v_trunc_f32_e32 v1, v1
	s_delay_alu instid0(VALU_DEP_1) | instskip(SKIP_1) | instid1(VALU_DEP_2)
	v_fmamk_f32 v0, v1, 0xcf800000, v0
	v_cvt_u32_f32_e32 v1, v1
	v_cvt_u32_f32_e32 v0, v0
	s_delay_alu instid0(VALU_DEP_2) | instskip(NEXT) | instid1(VALU_DEP_2)
	v_mul_lo_u32 v2, s0, v1
	v_mul_hi_u32 v3, s0, v0
	v_mul_lo_u32 v7, s6, v0
	s_delay_alu instid0(VALU_DEP_2) | instskip(SKIP_1) | instid1(VALU_DEP_2)
	v_add_nc_u32_e32 v2, v3, v2
	v_mul_lo_u32 v3, s0, v0
	v_add_nc_u32_e32 v2, v2, v7
	s_delay_alu instid0(VALU_DEP_2) | instskip(NEXT) | instid1(VALU_DEP_2)
	v_mul_hi_u32 v7, v0, v3
	v_mul_lo_u32 v8, v0, v2
	v_mul_hi_u32 v9, v0, v2
	v_mul_hi_u32 v10, v1, v3
	v_mul_lo_u32 v3, v1, v3
	v_mul_hi_u32 v11, v1, v2
	v_mul_lo_u32 v2, v1, v2
	v_add_co_u32 v7, vcc_lo, v7, v8
	v_add_co_ci_u32_e32 v8, vcc_lo, 0, v9, vcc_lo
	s_delay_alu instid0(VALU_DEP_2) | instskip(NEXT) | instid1(VALU_DEP_2)
	v_add_co_u32 v3, vcc_lo, v7, v3
	v_add_co_ci_u32_e32 v3, vcc_lo, v8, v10, vcc_lo
	v_add_co_ci_u32_e32 v7, vcc_lo, 0, v11, vcc_lo
	s_delay_alu instid0(VALU_DEP_2) | instskip(NEXT) | instid1(VALU_DEP_2)
	v_add_co_u32 v2, vcc_lo, v3, v2
	v_add_co_ci_u32_e32 v3, vcc_lo, 0, v7, vcc_lo
	s_delay_alu instid0(VALU_DEP_2) | instskip(NEXT) | instid1(VALU_DEP_2)
	v_add_co_u32 v0, vcc_lo, v0, v2
	v_add_co_ci_u32_e32 v1, vcc_lo, v1, v3, vcc_lo
	s_delay_alu instid0(VALU_DEP_2) | instskip(SKIP_1) | instid1(VALU_DEP_3)
	v_mul_hi_u32 v2, s0, v0
	v_mul_lo_u32 v7, s6, v0
	v_mul_lo_u32 v3, s0, v1
	s_delay_alu instid0(VALU_DEP_1) | instskip(SKIP_1) | instid1(VALU_DEP_2)
	v_add_nc_u32_e32 v2, v2, v3
	v_mul_lo_u32 v3, s0, v0
	v_add_nc_u32_e32 v2, v2, v7
	s_delay_alu instid0(VALU_DEP_2) | instskip(NEXT) | instid1(VALU_DEP_2)
	v_mul_hi_u32 v7, v0, v3
	v_mul_lo_u32 v8, v0, v2
	v_mul_hi_u32 v9, v0, v2
	v_mul_hi_u32 v10, v1, v3
	v_mul_lo_u32 v3, v1, v3
	v_mul_hi_u32 v11, v1, v2
	v_mul_lo_u32 v2, v1, v2
	v_add_co_u32 v7, vcc_lo, v7, v8
	v_add_co_ci_u32_e32 v8, vcc_lo, 0, v9, vcc_lo
	s_delay_alu instid0(VALU_DEP_2) | instskip(NEXT) | instid1(VALU_DEP_2)
	v_add_co_u32 v3, vcc_lo, v7, v3
	v_add_co_ci_u32_e32 v3, vcc_lo, v8, v10, vcc_lo
	v_add_co_ci_u32_e32 v7, vcc_lo, 0, v11, vcc_lo
	s_delay_alu instid0(VALU_DEP_2) | instskip(NEXT) | instid1(VALU_DEP_2)
	v_add_co_u32 v2, vcc_lo, v3, v2
	v_add_co_ci_u32_e32 v3, vcc_lo, 0, v7, vcc_lo
	s_delay_alu instid0(VALU_DEP_2) | instskip(NEXT) | instid1(VALU_DEP_2)
	v_add_co_u32 v7, vcc_lo, v0, v2
	v_add_co_ci_u32_e32 v9, vcc_lo, v1, v3, vcc_lo
	s_delay_alu instid0(VALU_DEP_2) | instskip(SKIP_1) | instid1(VALU_DEP_3)
	v_mul_hi_u32 v10, v4, v7
	v_mad_u64_u32 v[2:3], null, v5, v7, 0
	v_mad_u64_u32 v[0:1], null, v4, v9, 0
	;; [unrolled: 1-line block ×3, first 2 shown]
	s_delay_alu instid0(VALU_DEP_2) | instskip(NEXT) | instid1(VALU_DEP_3)
	v_add_co_u32 v0, vcc_lo, v10, v0
	v_add_co_ci_u32_e32 v1, vcc_lo, 0, v1, vcc_lo
	s_delay_alu instid0(VALU_DEP_2) | instskip(NEXT) | instid1(VALU_DEP_2)
	v_add_co_u32 v0, vcc_lo, v0, v2
	v_add_co_ci_u32_e32 v0, vcc_lo, v1, v3, vcc_lo
	v_add_co_ci_u32_e32 v1, vcc_lo, 0, v8, vcc_lo
	s_delay_alu instid0(VALU_DEP_2) | instskip(NEXT) | instid1(VALU_DEP_2)
	v_add_co_u32 v2, vcc_lo, v0, v7
	v_add_co_ci_u32_e32 v3, vcc_lo, 0, v1, vcc_lo
	s_delay_alu instid0(VALU_DEP_2) | instskip(SKIP_1) | instid1(VALU_DEP_3)
	v_mul_lo_u32 v7, s11, v2
	v_mad_u64_u32 v[0:1], null, s10, v2, 0
	v_mul_lo_u32 v2, s10, v3
	s_delay_alu instid0(VALU_DEP_2) | instskip(NEXT) | instid1(VALU_DEP_2)
	v_sub_co_u32 v0, vcc_lo, v4, v0
	v_add3_u32 v1, v1, v2, v7
	s_delay_alu instid0(VALU_DEP_1) | instskip(NEXT) | instid1(VALU_DEP_1)
	v_sub_nc_u32_e32 v2, v5, v1
	v_subrev_co_ci_u32_e64 v2, s0, s11, v2, vcc_lo
	v_sub_co_ci_u32_e32 v1, vcc_lo, v5, v1, vcc_lo
	v_sub_co_u32 v3, vcc_lo, v0, s10
	s_delay_alu instid0(VALU_DEP_1) | instskip(SKIP_3) | instid1(VALU_DEP_3)
	v_subrev_co_ci_u32_e64 v7, s0, 0, v2, vcc_lo
	v_cmp_le_u32_e64 s0, s10, v0
	v_subrev_co_ci_u32_e32 v2, vcc_lo, s11, v2, vcc_lo
	v_cmp_le_u32_e32 vcc_lo, s11, v1
	v_cndmask_b32_e64 v8, 0, -1, s0
	v_cmp_le_u32_e64 s0, s10, v3
	v_cndmask_b32_e64 v11, 0, -1, vcc_lo
	v_cmp_eq_u32_e32 vcc_lo, s11, v7
	s_delay_alu instid0(VALU_DEP_3) | instskip(SKIP_1) | instid1(VALU_DEP_1)
	v_cndmask_b32_e64 v9, 0, -1, s0
	v_cmp_le_u32_e64 s0, s11, v7
	v_cndmask_b32_e64 v10, 0, -1, s0
	v_cmp_eq_u32_e64 s0, s11, v1
	s_delay_alu instid0(VALU_DEP_2) | instskip(SKIP_2) | instid1(VALU_DEP_3)
	v_cndmask_b32_e32 v9, v10, v9, vcc_lo
	v_sub_co_u32 v10, vcc_lo, v3, s10
	v_subrev_co_ci_u32_e32 v2, vcc_lo, 0, v2, vcc_lo
	v_cmp_ne_u32_e32 vcc_lo, 0, v9
	v_cndmask_b32_e64 v8, v11, v8, s0
	s_delay_alu instid0(VALU_DEP_3) | instskip(SKIP_1) | instid1(VALU_DEP_3)
	v_cndmask_b32_e32 v2, v7, v2, vcc_lo
	v_cndmask_b32_e32 v3, v3, v10, vcc_lo
	v_cmp_ne_u32_e32 vcc_lo, 0, v8
	s_delay_alu instid0(VALU_DEP_2)
	v_dual_cndmask_b32 v1, v1, v2 :: v_dual_cndmask_b32 v0, v0, v3
.LBB57_9:
	s_and_not1_saveexec_b32 s0, s1
	s_cbranch_execz .LBB57_11
; %bb.10:
	v_cvt_f32_u32_e32 v0, s10
	s_sub_i32 s1, 0, s10
	s_delay_alu instid0(VALU_DEP_1) | instskip(SKIP_2) | instid1(VALU_DEP_1)
	v_rcp_iflag_f32_e32 v0, v0
	s_waitcnt_depctr 0xfff
	v_mul_f32_e32 v0, 0x4f7ffffe, v0
	v_cvt_u32_f32_e32 v0, v0
	s_delay_alu instid0(VALU_DEP_1) | instskip(NEXT) | instid1(VALU_DEP_1)
	v_mul_lo_u32 v1, s1, v0
	v_mul_hi_u32 v1, v0, v1
	s_delay_alu instid0(VALU_DEP_1) | instskip(NEXT) | instid1(VALU_DEP_1)
	v_add_nc_u32_e32 v0, v0, v1
	v_mul_hi_u32 v0, v4, v0
	s_delay_alu instid0(VALU_DEP_1) | instskip(NEXT) | instid1(VALU_DEP_1)
	v_mul_lo_u32 v0, v0, s10
	v_sub_nc_u32_e32 v0, v4, v0
	s_delay_alu instid0(VALU_DEP_1) | instskip(SKIP_1) | instid1(VALU_DEP_2)
	v_subrev_nc_u32_e32 v1, s10, v0
	v_cmp_le_u32_e32 vcc_lo, s10, v0
	v_cndmask_b32_e32 v0, v0, v1, vcc_lo
	s_delay_alu instid0(VALU_DEP_1) | instskip(SKIP_1) | instid1(VALU_DEP_2)
	v_subrev_nc_u32_e32 v1, s10, v0
	v_cmp_le_u32_e32 vcc_lo, s10, v0
	v_dual_cndmask_b32 v0, v0, v1 :: v_dual_mov_b32 v1, 0
.LBB57_11:
	s_or_b32 exec_lo, exec_lo, s0
	s_waitcnt lgkmcnt(0)
	s_delay_alu instid0(VALU_DEP_1) | instskip(SKIP_1) | instid1(VALU_DEP_1)
	v_or_b32_e32 v3, s3, v1
	v_mov_b32_e32 v2, 0
	v_cmp_ne_u64_e32 vcc_lo, 0, v[2:3]
                                        ; implicit-def: $vgpr2_vgpr3
	s_and_saveexec_b32 s0, vcc_lo
	s_delay_alu instid0(SALU_CYCLE_1)
	s_xor_b32 s1, exec_lo, s0
	s_cbranch_execz .LBB57_13
; %bb.12:
	v_cvt_f32_u32_e32 v2, s2
	v_cvt_f32_u32_e32 v3, s3
	s_sub_u32 s0, 0, s2
	s_subb_u32 s6, 0, s3
	s_delay_alu instid0(VALU_DEP_1) | instskip(NEXT) | instid1(VALU_DEP_1)
	v_fmamk_f32 v2, v3, 0x4f800000, v2
	v_rcp_f32_e32 v2, v2
	s_waitcnt_depctr 0xfff
	v_mul_f32_e32 v2, 0x5f7ffffc, v2
	s_delay_alu instid0(VALU_DEP_1) | instskip(NEXT) | instid1(VALU_DEP_1)
	v_mul_f32_e32 v3, 0x2f800000, v2
	v_trunc_f32_e32 v3, v3
	s_delay_alu instid0(VALU_DEP_1) | instskip(SKIP_1) | instid1(VALU_DEP_2)
	v_fmamk_f32 v2, v3, 0xcf800000, v2
	v_cvt_u32_f32_e32 v3, v3
	v_cvt_u32_f32_e32 v2, v2
	s_delay_alu instid0(VALU_DEP_2) | instskip(NEXT) | instid1(VALU_DEP_2)
	v_mul_lo_u32 v7, s0, v3
	v_mul_hi_u32 v8, s0, v2
	v_mul_lo_u32 v9, s6, v2
	s_delay_alu instid0(VALU_DEP_2) | instskip(SKIP_1) | instid1(VALU_DEP_2)
	v_add_nc_u32_e32 v7, v8, v7
	v_mul_lo_u32 v8, s0, v2
	v_add_nc_u32_e32 v7, v7, v9
	s_delay_alu instid0(VALU_DEP_2) | instskip(NEXT) | instid1(VALU_DEP_2)
	v_mul_hi_u32 v9, v2, v8
	v_mul_lo_u32 v10, v2, v7
	v_mul_hi_u32 v11, v2, v7
	v_mul_hi_u32 v12, v3, v8
	v_mul_lo_u32 v8, v3, v8
	v_mul_hi_u32 v13, v3, v7
	v_mul_lo_u32 v7, v3, v7
	v_add_co_u32 v9, vcc_lo, v9, v10
	v_add_co_ci_u32_e32 v10, vcc_lo, 0, v11, vcc_lo
	s_delay_alu instid0(VALU_DEP_2) | instskip(NEXT) | instid1(VALU_DEP_2)
	v_add_co_u32 v8, vcc_lo, v9, v8
	v_add_co_ci_u32_e32 v8, vcc_lo, v10, v12, vcc_lo
	v_add_co_ci_u32_e32 v9, vcc_lo, 0, v13, vcc_lo
	s_delay_alu instid0(VALU_DEP_2) | instskip(NEXT) | instid1(VALU_DEP_2)
	v_add_co_u32 v7, vcc_lo, v8, v7
	v_add_co_ci_u32_e32 v8, vcc_lo, 0, v9, vcc_lo
	s_delay_alu instid0(VALU_DEP_2) | instskip(NEXT) | instid1(VALU_DEP_2)
	v_add_co_u32 v2, vcc_lo, v2, v7
	v_add_co_ci_u32_e32 v3, vcc_lo, v3, v8, vcc_lo
	s_delay_alu instid0(VALU_DEP_2) | instskip(SKIP_1) | instid1(VALU_DEP_3)
	v_mul_hi_u32 v7, s0, v2
	v_mul_lo_u32 v9, s6, v2
	v_mul_lo_u32 v8, s0, v3
	s_delay_alu instid0(VALU_DEP_1) | instskip(SKIP_1) | instid1(VALU_DEP_2)
	v_add_nc_u32_e32 v7, v7, v8
	v_mul_lo_u32 v8, s0, v2
	v_add_nc_u32_e32 v7, v7, v9
	s_delay_alu instid0(VALU_DEP_2) | instskip(NEXT) | instid1(VALU_DEP_2)
	v_mul_hi_u32 v9, v2, v8
	v_mul_lo_u32 v10, v2, v7
	v_mul_hi_u32 v11, v2, v7
	v_mul_hi_u32 v12, v3, v8
	v_mul_lo_u32 v8, v3, v8
	v_mul_hi_u32 v13, v3, v7
	v_mul_lo_u32 v7, v3, v7
	v_add_co_u32 v9, vcc_lo, v9, v10
	v_add_co_ci_u32_e32 v10, vcc_lo, 0, v11, vcc_lo
	s_delay_alu instid0(VALU_DEP_2) | instskip(NEXT) | instid1(VALU_DEP_2)
	v_add_co_u32 v8, vcc_lo, v9, v8
	v_add_co_ci_u32_e32 v8, vcc_lo, v10, v12, vcc_lo
	v_add_co_ci_u32_e32 v9, vcc_lo, 0, v13, vcc_lo
	s_delay_alu instid0(VALU_DEP_2) | instskip(NEXT) | instid1(VALU_DEP_2)
	v_add_co_u32 v7, vcc_lo, v8, v7
	v_add_co_ci_u32_e32 v8, vcc_lo, 0, v9, vcc_lo
	s_delay_alu instid0(VALU_DEP_2) | instskip(NEXT) | instid1(VALU_DEP_2)
	v_add_co_u32 v9, vcc_lo, v2, v7
	v_add_co_ci_u32_e32 v11, vcc_lo, v3, v8, vcc_lo
	s_delay_alu instid0(VALU_DEP_2) | instskip(SKIP_1) | instid1(VALU_DEP_3)
	v_mul_hi_u32 v12, v0, v9
	v_mad_u64_u32 v[7:8], null, v1, v9, 0
	v_mad_u64_u32 v[2:3], null, v0, v11, 0
	;; [unrolled: 1-line block ×3, first 2 shown]
	s_delay_alu instid0(VALU_DEP_2) | instskip(NEXT) | instid1(VALU_DEP_3)
	v_add_co_u32 v2, vcc_lo, v12, v2
	v_add_co_ci_u32_e32 v3, vcc_lo, 0, v3, vcc_lo
	s_delay_alu instid0(VALU_DEP_2) | instskip(NEXT) | instid1(VALU_DEP_2)
	v_add_co_u32 v2, vcc_lo, v2, v7
	v_add_co_ci_u32_e32 v2, vcc_lo, v3, v8, vcc_lo
	v_add_co_ci_u32_e32 v3, vcc_lo, 0, v10, vcc_lo
	s_delay_alu instid0(VALU_DEP_2) | instskip(NEXT) | instid1(VALU_DEP_2)
	v_add_co_u32 v7, vcc_lo, v2, v9
	v_add_co_ci_u32_e32 v8, vcc_lo, 0, v3, vcc_lo
	s_delay_alu instid0(VALU_DEP_2) | instskip(SKIP_1) | instid1(VALU_DEP_3)
	v_mul_lo_u32 v9, s3, v7
	v_mad_u64_u32 v[2:3], null, s2, v7, 0
	v_mul_lo_u32 v8, s2, v8
	s_delay_alu instid0(VALU_DEP_2) | instskip(NEXT) | instid1(VALU_DEP_2)
	v_sub_co_u32 v2, vcc_lo, v0, v2
	v_add3_u32 v3, v3, v8, v9
	v_add_co_u32 v9, s0, v7, 2
	s_delay_alu instid0(VALU_DEP_2) | instskip(NEXT) | instid1(VALU_DEP_1)
	v_sub_nc_u32_e32 v8, v1, v3
	v_subrev_co_ci_u32_e64 v8, s0, s3, v8, vcc_lo
	v_sub_co_u32 v10, s0, v2, s2
	v_sub_co_ci_u32_e32 v1, vcc_lo, v1, v3, vcc_lo
	s_delay_alu instid0(VALU_DEP_3) | instskip(NEXT) | instid1(VALU_DEP_3)
	v_subrev_co_ci_u32_e64 v8, s0, 0, v8, s0
	v_cmp_le_u32_e32 vcc_lo, s2, v10
	v_cndmask_b32_e64 v3, 0, -1, vcc_lo
	s_delay_alu instid0(VALU_DEP_3)
	v_cmp_le_u32_e32 vcc_lo, s3, v8
	v_cndmask_b32_e64 v10, 0, -1, vcc_lo
	v_cmp_le_u32_e32 vcc_lo, s2, v2
	v_cndmask_b32_e64 v2, 0, -1, vcc_lo
	;; [unrolled: 2-line block ×3, first 2 shown]
	v_cmp_eq_u32_e32 vcc_lo, s3, v8
	v_cndmask_b32_e32 v3, v10, v3, vcc_lo
	v_add_co_u32 v8, vcc_lo, v7, 1
	v_cmp_eq_u32_e32 vcc_lo, s3, v1
	v_cndmask_b32_e32 v1, v11, v2, vcc_lo
	s_delay_alu instid0(VALU_DEP_4) | instskip(NEXT) | instid1(VALU_DEP_4)
	v_cmp_ne_u32_e32 vcc_lo, 0, v3
	v_cndmask_b32_e32 v2, v8, v9, vcc_lo
	s_delay_alu instid0(VALU_DEP_3) | instskip(NEXT) | instid1(VALU_DEP_2)
	v_cmp_ne_u32_e32 vcc_lo, 0, v1
	v_cndmask_b32_e32 v2, v7, v2, vcc_lo
.LBB57_13:
	s_and_not1_saveexec_b32 s0, s1
	s_cbranch_execz .LBB57_15
; %bb.14:
	v_cvt_f32_u32_e32 v1, s2
	s_sub_i32 s1, 0, s2
	s_delay_alu instid0(VALU_DEP_1) | instskip(SKIP_2) | instid1(VALU_DEP_1)
	v_rcp_iflag_f32_e32 v1, v1
	s_waitcnt_depctr 0xfff
	v_mul_f32_e32 v1, 0x4f7ffffe, v1
	v_cvt_u32_f32_e32 v1, v1
	s_delay_alu instid0(VALU_DEP_1) | instskip(NEXT) | instid1(VALU_DEP_1)
	v_mul_lo_u32 v2, s1, v1
	v_mul_hi_u32 v2, v1, v2
	s_delay_alu instid0(VALU_DEP_1) | instskip(NEXT) | instid1(VALU_DEP_1)
	v_add_nc_u32_e32 v1, v1, v2
	v_mul_hi_u32 v1, v0, v1
	s_delay_alu instid0(VALU_DEP_1) | instskip(SKIP_1) | instid1(VALU_DEP_2)
	v_mul_lo_u32 v2, v1, s2
	v_add_nc_u32_e32 v3, 1, v1
	v_sub_nc_u32_e32 v2, v0, v2
	s_delay_alu instid0(VALU_DEP_1) | instskip(SKIP_1) | instid1(VALU_DEP_2)
	v_subrev_nc_u32_e32 v7, s2, v2
	v_cmp_le_u32_e32 vcc_lo, s2, v2
	v_cndmask_b32_e32 v2, v2, v7, vcc_lo
	v_cndmask_b32_e32 v1, v1, v3, vcc_lo
	s_delay_alu instid0(VALU_DEP_2) | instskip(NEXT) | instid1(VALU_DEP_2)
	v_cmp_le_u32_e32 vcc_lo, s2, v2
	v_add_nc_u32_e32 v3, 1, v1
	s_delay_alu instid0(VALU_DEP_1)
	v_cndmask_b32_e32 v2, v1, v3, vcc_lo
.LBB57_15:
	s_or_b32 exec_lo, exec_lo, s0
	s_delay_alu instid0(VALU_DEP_1) | instskip(NEXT) | instid1(VALU_DEP_1)
	v_mul_lo_u32 v1, v2, s2
	v_sub_nc_u32_e32 v0, v0, v1
	v_xor_b32_e32 v1, 0x80, v6
	s_delay_alu instid0(VALU_DEP_2) | instskip(NEXT) | instid1(VALU_DEP_1)
	v_xor_b32_e32 v0, v0, v2
	v_and_b32_e32 v0, 1, v0
	s_delay_alu instid0(VALU_DEP_1) | instskip(NEXT) | instid1(VALU_DEP_4)
	v_cmp_eq_u32_e32 vcc_lo, 0, v0
	v_cndmask_b32_e32 v2, v6, v1, vcc_lo
	v_add_co_u32 v0, vcc_lo, s4, v4
	v_add_co_ci_u32_e32 v1, vcc_lo, s5, v5, vcc_lo
	global_store_b8 v[0:1], v2, off
.LBB57_16:
	s_nop 0
	s_sendmsg sendmsg(MSG_DEALLOC_VGPRS)
	s_endpgm
	.section	.rodata,"a",@progbits
	.p2align	6, 0x0
	.amdhsa_kernel _Z11fill_kernelI18hipblaslt_bf8_fnuzZ21hipblaslt_init_deviceIS0_Ev8ABC_dims24hipblaslt_initializationbPT_mmmmmEUlmE1_EvS5_mmT0_
		.amdhsa_group_segment_fixed_size 0
		.amdhsa_private_segment_fixed_size 0
		.amdhsa_kernarg_size 296
		.amdhsa_user_sgpr_count 15
		.amdhsa_user_sgpr_dispatch_ptr 0
		.amdhsa_user_sgpr_queue_ptr 0
		.amdhsa_user_sgpr_kernarg_segment_ptr 1
		.amdhsa_user_sgpr_dispatch_id 0
		.amdhsa_user_sgpr_private_segment_size 0
		.amdhsa_wavefront_size32 1
		.amdhsa_uses_dynamic_stack 0
		.amdhsa_enable_private_segment 0
		.amdhsa_system_sgpr_workgroup_id_x 1
		.amdhsa_system_sgpr_workgroup_id_y 0
		.amdhsa_system_sgpr_workgroup_id_z 0
		.amdhsa_system_sgpr_workgroup_info 0
		.amdhsa_system_vgpr_workitem_id 0
		.amdhsa_next_free_vgpr 14
		.amdhsa_next_free_sgpr 16
		.amdhsa_reserve_vcc 1
		.amdhsa_float_round_mode_32 0
		.amdhsa_float_round_mode_16_64 0
		.amdhsa_float_denorm_mode_32 3
		.amdhsa_float_denorm_mode_16_64 3
		.amdhsa_dx10_clamp 1
		.amdhsa_ieee_mode 1
		.amdhsa_fp16_overflow 0
		.amdhsa_workgroup_processor_mode 1
		.amdhsa_memory_ordered 1
		.amdhsa_forward_progress 0
		.amdhsa_shared_vgpr_count 0
		.amdhsa_exception_fp_ieee_invalid_op 0
		.amdhsa_exception_fp_denorm_src 0
		.amdhsa_exception_fp_ieee_div_zero 0
		.amdhsa_exception_fp_ieee_overflow 0
		.amdhsa_exception_fp_ieee_underflow 0
		.amdhsa_exception_fp_ieee_inexact 0
		.amdhsa_exception_int_div_zero 0
	.end_amdhsa_kernel
	.section	.text._Z11fill_kernelI18hipblaslt_bf8_fnuzZ21hipblaslt_init_deviceIS0_Ev8ABC_dims24hipblaslt_initializationbPT_mmmmmEUlmE1_EvS5_mmT0_,"axG",@progbits,_Z11fill_kernelI18hipblaslt_bf8_fnuzZ21hipblaslt_init_deviceIS0_Ev8ABC_dims24hipblaslt_initializationbPT_mmmmmEUlmE1_EvS5_mmT0_,comdat
.Lfunc_end57:
	.size	_Z11fill_kernelI18hipblaslt_bf8_fnuzZ21hipblaslt_init_deviceIS0_Ev8ABC_dims24hipblaslt_initializationbPT_mmmmmEUlmE1_EvS5_mmT0_, .Lfunc_end57-_Z11fill_kernelI18hipblaslt_bf8_fnuzZ21hipblaslt_init_deviceIS0_Ev8ABC_dims24hipblaslt_initializationbPT_mmmmmEUlmE1_EvS5_mmT0_
                                        ; -- End function
	.section	.AMDGPU.csdata,"",@progbits
; Kernel info:
; codeLenInByte = 2668
; NumSgprs: 18
; NumVgprs: 14
; ScratchSize: 0
; MemoryBound: 0
; FloatMode: 240
; IeeeMode: 1
; LDSByteSize: 0 bytes/workgroup (compile time only)
; SGPRBlocks: 2
; VGPRBlocks: 1
; NumSGPRsForWavesPerEU: 18
; NumVGPRsForWavesPerEU: 14
; Occupancy: 16
; WaveLimiterHint : 0
; COMPUTE_PGM_RSRC2:SCRATCH_EN: 0
; COMPUTE_PGM_RSRC2:USER_SGPR: 15
; COMPUTE_PGM_RSRC2:TRAP_HANDLER: 0
; COMPUTE_PGM_RSRC2:TGID_X_EN: 1
; COMPUTE_PGM_RSRC2:TGID_Y_EN: 0
; COMPUTE_PGM_RSRC2:TGID_Z_EN: 0
; COMPUTE_PGM_RSRC2:TIDIG_COMP_CNT: 0
	.section	.text._Z11fill_kernelI18hipblaslt_bf8_fnuzZ21hipblaslt_init_deviceIS0_Ev8ABC_dims24hipblaslt_initializationbPT_mmmmmEUlmE2_EvS5_mmT0_,"axG",@progbits,_Z11fill_kernelI18hipblaslt_bf8_fnuzZ21hipblaslt_init_deviceIS0_Ev8ABC_dims24hipblaslt_initializationbPT_mmmmmEUlmE2_EvS5_mmT0_,comdat
	.protected	_Z11fill_kernelI18hipblaslt_bf8_fnuzZ21hipblaslt_init_deviceIS0_Ev8ABC_dims24hipblaslt_initializationbPT_mmmmmEUlmE2_EvS5_mmT0_ ; -- Begin function _Z11fill_kernelI18hipblaslt_bf8_fnuzZ21hipblaslt_init_deviceIS0_Ev8ABC_dims24hipblaslt_initializationbPT_mmmmmEUlmE2_EvS5_mmT0_
	.globl	_Z11fill_kernelI18hipblaslt_bf8_fnuzZ21hipblaslt_init_deviceIS0_Ev8ABC_dims24hipblaslt_initializationbPT_mmmmmEUlmE2_EvS5_mmT0_
	.p2align	8
	.type	_Z11fill_kernelI18hipblaslt_bf8_fnuzZ21hipblaslt_init_deviceIS0_Ev8ABC_dims24hipblaslt_initializationbPT_mmmmmEUlmE2_EvS5_mmT0_,@function
_Z11fill_kernelI18hipblaslt_bf8_fnuzZ21hipblaslt_init_deviceIS0_Ev8ABC_dims24hipblaslt_initializationbPT_mmmmmEUlmE2_EvS5_mmT0_: ; @_Z11fill_kernelI18hipblaslt_bf8_fnuzZ21hipblaslt_init_deviceIS0_Ev8ABC_dims24hipblaslt_initializationbPT_mmmmmEUlmE2_EvS5_mmT0_
; %bb.0:
	s_clause 0x1
	s_load_b32 s2, s[0:1], 0x44
	s_load_b128 s[16:19], s[0:1], 0x0
	s_waitcnt lgkmcnt(0)
	s_and_b32 s2, s2, 0xffff
	s_delay_alu instid0(SALU_CYCLE_1) | instskip(SKIP_2) | instid1(VALU_DEP_1)
	v_mad_u64_u32 v[1:2], null, s15, s2, v[0:1]
	v_mov_b32_e32 v2, 0
	s_mov_b32 s2, exec_lo
	v_cmpx_gt_u64_e64 s[18:19], v[1:2]
	s_cbranch_execz .LBB58_28
; %bb.1:
	s_clause 0x1
	s_load_b64 s[2:3], s[0:1], 0x10
	s_load_b256 s[4:11], s[0:1], 0x18
	v_mov_b32_e32 v0, v2
	s_waitcnt lgkmcnt(0)
	v_add_co_u32 v6, s0, v1, s2
	s_delay_alu instid0(VALU_DEP_1) | instskip(NEXT) | instid1(VALU_DEP_1)
	v_add_co_ci_u32_e64 v7, null, 0, s3, s0
	v_or_b32_e32 v1, s9, v7
	s_delay_alu instid0(VALU_DEP_1) | instskip(SKIP_1) | instid1(SALU_CYCLE_1)
	v_cmp_ne_u64_e32 vcc_lo, 0, v[0:1]
                                        ; implicit-def: $vgpr0_vgpr1
	s_and_saveexec_b32 s0, vcc_lo
	s_xor_b32 s1, exec_lo, s0
	s_cbranch_execz .LBB58_3
; %bb.2:
	v_cvt_f32_u32_e32 v0, s8
	v_cvt_f32_u32_e32 v1, s9
	s_sub_u32 s0, 0, s8
	s_subb_u32 s2, 0, s9
	s_delay_alu instid0(VALU_DEP_1) | instskip(NEXT) | instid1(VALU_DEP_1)
	v_fmamk_f32 v0, v1, 0x4f800000, v0
	v_rcp_f32_e32 v0, v0
	s_waitcnt_depctr 0xfff
	v_mul_f32_e32 v0, 0x5f7ffffc, v0
	s_delay_alu instid0(VALU_DEP_1) | instskip(NEXT) | instid1(VALU_DEP_1)
	v_mul_f32_e32 v1, 0x2f800000, v0
	v_trunc_f32_e32 v1, v1
	s_delay_alu instid0(VALU_DEP_1) | instskip(SKIP_1) | instid1(VALU_DEP_2)
	v_fmamk_f32 v0, v1, 0xcf800000, v0
	v_cvt_u32_f32_e32 v1, v1
	v_cvt_u32_f32_e32 v0, v0
	s_delay_alu instid0(VALU_DEP_2) | instskip(NEXT) | instid1(VALU_DEP_2)
	v_mul_lo_u32 v2, s0, v1
	v_mul_hi_u32 v3, s0, v0
	v_mul_lo_u32 v4, s2, v0
	s_delay_alu instid0(VALU_DEP_2) | instskip(SKIP_1) | instid1(VALU_DEP_2)
	v_add_nc_u32_e32 v2, v3, v2
	v_mul_lo_u32 v3, s0, v0
	v_add_nc_u32_e32 v2, v2, v4
	s_delay_alu instid0(VALU_DEP_2) | instskip(NEXT) | instid1(VALU_DEP_2)
	v_mul_hi_u32 v4, v0, v3
	v_mul_lo_u32 v5, v0, v2
	v_mul_hi_u32 v8, v0, v2
	v_mul_hi_u32 v9, v1, v3
	v_mul_lo_u32 v3, v1, v3
	v_mul_hi_u32 v10, v1, v2
	v_mul_lo_u32 v2, v1, v2
	v_add_co_u32 v4, vcc_lo, v4, v5
	v_add_co_ci_u32_e32 v5, vcc_lo, 0, v8, vcc_lo
	s_delay_alu instid0(VALU_DEP_2) | instskip(NEXT) | instid1(VALU_DEP_2)
	v_add_co_u32 v3, vcc_lo, v4, v3
	v_add_co_ci_u32_e32 v3, vcc_lo, v5, v9, vcc_lo
	v_add_co_ci_u32_e32 v4, vcc_lo, 0, v10, vcc_lo
	s_delay_alu instid0(VALU_DEP_2) | instskip(NEXT) | instid1(VALU_DEP_2)
	v_add_co_u32 v2, vcc_lo, v3, v2
	v_add_co_ci_u32_e32 v3, vcc_lo, 0, v4, vcc_lo
	s_delay_alu instid0(VALU_DEP_2) | instskip(NEXT) | instid1(VALU_DEP_2)
	v_add_co_u32 v0, vcc_lo, v0, v2
	v_add_co_ci_u32_e32 v1, vcc_lo, v1, v3, vcc_lo
	s_delay_alu instid0(VALU_DEP_2) | instskip(SKIP_1) | instid1(VALU_DEP_3)
	v_mul_hi_u32 v2, s0, v0
	v_mul_lo_u32 v4, s2, v0
	v_mul_lo_u32 v3, s0, v1
	s_delay_alu instid0(VALU_DEP_1) | instskip(SKIP_1) | instid1(VALU_DEP_2)
	v_add_nc_u32_e32 v2, v2, v3
	v_mul_lo_u32 v3, s0, v0
	v_add_nc_u32_e32 v2, v2, v4
	s_delay_alu instid0(VALU_DEP_2) | instskip(NEXT) | instid1(VALU_DEP_2)
	v_mul_hi_u32 v4, v0, v3
	v_mul_lo_u32 v5, v0, v2
	v_mul_hi_u32 v8, v0, v2
	v_mul_hi_u32 v9, v1, v3
	v_mul_lo_u32 v3, v1, v3
	v_mul_hi_u32 v10, v1, v2
	v_mul_lo_u32 v2, v1, v2
	v_add_co_u32 v4, vcc_lo, v4, v5
	v_add_co_ci_u32_e32 v5, vcc_lo, 0, v8, vcc_lo
	s_delay_alu instid0(VALU_DEP_2) | instskip(NEXT) | instid1(VALU_DEP_2)
	v_add_co_u32 v3, vcc_lo, v4, v3
	v_add_co_ci_u32_e32 v3, vcc_lo, v5, v9, vcc_lo
	v_add_co_ci_u32_e32 v4, vcc_lo, 0, v10, vcc_lo
	s_delay_alu instid0(VALU_DEP_2) | instskip(NEXT) | instid1(VALU_DEP_2)
	v_add_co_u32 v2, vcc_lo, v3, v2
	v_add_co_ci_u32_e32 v3, vcc_lo, 0, v4, vcc_lo
	s_delay_alu instid0(VALU_DEP_2) | instskip(NEXT) | instid1(VALU_DEP_2)
	v_add_co_u32 v4, vcc_lo, v0, v2
	v_add_co_ci_u32_e32 v8, vcc_lo, v1, v3, vcc_lo
	s_delay_alu instid0(VALU_DEP_2) | instskip(SKIP_1) | instid1(VALU_DEP_3)
	v_mul_hi_u32 v9, v6, v4
	v_mad_u64_u32 v[2:3], null, v7, v4, 0
	v_mad_u64_u32 v[0:1], null, v6, v8, 0
	;; [unrolled: 1-line block ×3, first 2 shown]
	s_delay_alu instid0(VALU_DEP_2) | instskip(NEXT) | instid1(VALU_DEP_3)
	v_add_co_u32 v0, vcc_lo, v9, v0
	v_add_co_ci_u32_e32 v1, vcc_lo, 0, v1, vcc_lo
	s_delay_alu instid0(VALU_DEP_2) | instskip(NEXT) | instid1(VALU_DEP_2)
	v_add_co_u32 v0, vcc_lo, v0, v2
	v_add_co_ci_u32_e32 v0, vcc_lo, v1, v3, vcc_lo
	v_add_co_ci_u32_e32 v1, vcc_lo, 0, v5, vcc_lo
	s_delay_alu instid0(VALU_DEP_2) | instskip(NEXT) | instid1(VALU_DEP_2)
	v_add_co_u32 v2, vcc_lo, v0, v4
	v_add_co_ci_u32_e32 v3, vcc_lo, 0, v1, vcc_lo
	s_delay_alu instid0(VALU_DEP_2) | instskip(SKIP_1) | instid1(VALU_DEP_3)
	v_mul_lo_u32 v4, s9, v2
	v_mad_u64_u32 v[0:1], null, s8, v2, 0
	v_mul_lo_u32 v5, s8, v3
	s_delay_alu instid0(VALU_DEP_2) | instskip(NEXT) | instid1(VALU_DEP_2)
	v_sub_co_u32 v0, vcc_lo, v6, v0
	v_add3_u32 v1, v1, v5, v4
	s_delay_alu instid0(VALU_DEP_1) | instskip(NEXT) | instid1(VALU_DEP_1)
	v_sub_nc_u32_e32 v4, v7, v1
	v_subrev_co_ci_u32_e64 v4, s0, s9, v4, vcc_lo
	v_add_co_u32 v5, s0, v2, 2
	s_delay_alu instid0(VALU_DEP_1) | instskip(SKIP_3) | instid1(VALU_DEP_3)
	v_add_co_ci_u32_e64 v8, s0, 0, v3, s0
	v_sub_co_u32 v9, s0, v0, s8
	v_sub_co_ci_u32_e32 v1, vcc_lo, v7, v1, vcc_lo
	v_subrev_co_ci_u32_e64 v4, s0, 0, v4, s0
	v_cmp_le_u32_e32 vcc_lo, s8, v9
	s_delay_alu instid0(VALU_DEP_3) | instskip(SKIP_1) | instid1(VALU_DEP_4)
	v_cmp_eq_u32_e64 s0, s9, v1
	v_cndmask_b32_e64 v9, 0, -1, vcc_lo
	v_cmp_le_u32_e32 vcc_lo, s9, v4
	v_cndmask_b32_e64 v10, 0, -1, vcc_lo
	v_cmp_le_u32_e32 vcc_lo, s8, v0
	;; [unrolled: 2-line block ×3, first 2 shown]
	v_cndmask_b32_e64 v11, 0, -1, vcc_lo
	v_cmp_eq_u32_e32 vcc_lo, s9, v4
	s_delay_alu instid0(VALU_DEP_2) | instskip(SKIP_3) | instid1(VALU_DEP_3)
	v_cndmask_b32_e64 v0, v11, v0, s0
	v_cndmask_b32_e32 v4, v10, v9, vcc_lo
	v_add_co_u32 v9, vcc_lo, v2, 1
	v_add_co_ci_u32_e32 v10, vcc_lo, 0, v3, vcc_lo
	v_cmp_ne_u32_e32 vcc_lo, 0, v4
	s_delay_alu instid0(VALU_DEP_2) | instskip(SKIP_1) | instid1(VALU_DEP_2)
	v_dual_cndmask_b32 v1, v10, v8 :: v_dual_cndmask_b32 v4, v9, v5
	v_cmp_ne_u32_e32 vcc_lo, 0, v0
	v_dual_cndmask_b32 v1, v3, v1 :: v_dual_cndmask_b32 v0, v2, v4
.LBB58_3:
	s_and_not1_saveexec_b32 s0, s1
	s_cbranch_execz .LBB58_5
; %bb.4:
	v_cvt_f32_u32_e32 v0, s8
	s_sub_i32 s1, 0, s8
	s_delay_alu instid0(VALU_DEP_1) | instskip(SKIP_2) | instid1(VALU_DEP_1)
	v_rcp_iflag_f32_e32 v0, v0
	s_waitcnt_depctr 0xfff
	v_mul_f32_e32 v0, 0x4f7ffffe, v0
	v_cvt_u32_f32_e32 v0, v0
	s_delay_alu instid0(VALU_DEP_1) | instskip(NEXT) | instid1(VALU_DEP_1)
	v_mul_lo_u32 v1, s1, v0
	v_mul_hi_u32 v1, v0, v1
	s_delay_alu instid0(VALU_DEP_1) | instskip(NEXT) | instid1(VALU_DEP_1)
	v_add_nc_u32_e32 v0, v0, v1
	v_mul_hi_u32 v0, v6, v0
	s_delay_alu instid0(VALU_DEP_1) | instskip(SKIP_1) | instid1(VALU_DEP_2)
	v_mul_lo_u32 v1, v0, s8
	v_add_nc_u32_e32 v2, 1, v0
	v_sub_nc_u32_e32 v1, v6, v1
	s_delay_alu instid0(VALU_DEP_1) | instskip(SKIP_1) | instid1(VALU_DEP_2)
	v_subrev_nc_u32_e32 v3, s8, v1
	v_cmp_le_u32_e32 vcc_lo, s8, v1
	v_dual_cndmask_b32 v1, v1, v3 :: v_dual_cndmask_b32 v0, v0, v2
	s_delay_alu instid0(VALU_DEP_1) | instskip(NEXT) | instid1(VALU_DEP_2)
	v_cmp_le_u32_e32 vcc_lo, s8, v1
	v_dual_mov_b32 v1, 0 :: v_dual_add_nc_u32 v2, 1, v0
	s_delay_alu instid0(VALU_DEP_1)
	v_cndmask_b32_e32 v0, v0, v2, vcc_lo
.LBB58_5:
	s_or_b32 exec_lo, exec_lo, s0
	s_delay_alu instid0(VALU_DEP_1) | instskip(NEXT) | instid1(VALU_DEP_2)
	v_mul_lo_u32 v4, v1, s8
	v_mul_lo_u32 v5, v0, s9
	v_mad_u64_u32 v[2:3], null, v0, s8, 0
	s_delay_alu instid0(VALU_DEP_1) | instskip(NEXT) | instid1(VALU_DEP_2)
	v_add3_u32 v3, v3, v5, v4
	v_sub_co_u32 v4, vcc_lo, v6, v2
	v_mov_b32_e32 v2, 0
	s_delay_alu instid0(VALU_DEP_3) | instskip(NEXT) | instid1(VALU_DEP_1)
	v_sub_co_ci_u32_e32 v5, vcc_lo, v7, v3, vcc_lo
	v_or_b32_e32 v3, s11, v5
	s_delay_alu instid0(VALU_DEP_1) | instskip(SKIP_1) | instid1(SALU_CYCLE_1)
	v_cmp_ne_u64_e32 vcc_lo, 0, v[2:3]
                                        ; implicit-def: $vgpr2_vgpr3
	s_and_saveexec_b32 s0, vcc_lo
	s_xor_b32 s1, exec_lo, s0
	s_cbranch_execz .LBB58_7
; %bb.6:
	v_cvt_f32_u32_e32 v2, s10
	v_cvt_f32_u32_e32 v3, s11
	s_sub_u32 s0, 0, s10
	s_subb_u32 s2, 0, s11
	s_delay_alu instid0(VALU_DEP_1) | instskip(NEXT) | instid1(VALU_DEP_1)
	v_fmamk_f32 v2, v3, 0x4f800000, v2
	v_rcp_f32_e32 v2, v2
	s_waitcnt_depctr 0xfff
	v_mul_f32_e32 v2, 0x5f7ffffc, v2
	s_delay_alu instid0(VALU_DEP_1) | instskip(NEXT) | instid1(VALU_DEP_1)
	v_mul_f32_e32 v3, 0x2f800000, v2
	v_trunc_f32_e32 v3, v3
	s_delay_alu instid0(VALU_DEP_1) | instskip(SKIP_1) | instid1(VALU_DEP_2)
	v_fmamk_f32 v2, v3, 0xcf800000, v2
	v_cvt_u32_f32_e32 v3, v3
	v_cvt_u32_f32_e32 v2, v2
	s_delay_alu instid0(VALU_DEP_2) | instskip(NEXT) | instid1(VALU_DEP_2)
	v_mul_lo_u32 v8, s0, v3
	v_mul_hi_u32 v9, s0, v2
	v_mul_lo_u32 v10, s2, v2
	s_delay_alu instid0(VALU_DEP_2) | instskip(SKIP_1) | instid1(VALU_DEP_2)
	v_add_nc_u32_e32 v8, v9, v8
	v_mul_lo_u32 v9, s0, v2
	v_add_nc_u32_e32 v8, v8, v10
	s_delay_alu instid0(VALU_DEP_2) | instskip(NEXT) | instid1(VALU_DEP_2)
	v_mul_hi_u32 v10, v2, v9
	v_mul_lo_u32 v11, v2, v8
	v_mul_hi_u32 v12, v2, v8
	v_mul_hi_u32 v13, v3, v9
	v_mul_lo_u32 v9, v3, v9
	v_mul_hi_u32 v14, v3, v8
	v_mul_lo_u32 v8, v3, v8
	v_add_co_u32 v10, vcc_lo, v10, v11
	v_add_co_ci_u32_e32 v11, vcc_lo, 0, v12, vcc_lo
	s_delay_alu instid0(VALU_DEP_2) | instskip(NEXT) | instid1(VALU_DEP_2)
	v_add_co_u32 v9, vcc_lo, v10, v9
	v_add_co_ci_u32_e32 v9, vcc_lo, v11, v13, vcc_lo
	v_add_co_ci_u32_e32 v10, vcc_lo, 0, v14, vcc_lo
	s_delay_alu instid0(VALU_DEP_2) | instskip(NEXT) | instid1(VALU_DEP_2)
	v_add_co_u32 v8, vcc_lo, v9, v8
	v_add_co_ci_u32_e32 v9, vcc_lo, 0, v10, vcc_lo
	s_delay_alu instid0(VALU_DEP_2) | instskip(NEXT) | instid1(VALU_DEP_2)
	v_add_co_u32 v2, vcc_lo, v2, v8
	v_add_co_ci_u32_e32 v3, vcc_lo, v3, v9, vcc_lo
	s_delay_alu instid0(VALU_DEP_2) | instskip(SKIP_1) | instid1(VALU_DEP_3)
	v_mul_hi_u32 v8, s0, v2
	v_mul_lo_u32 v10, s2, v2
	v_mul_lo_u32 v9, s0, v3
	s_delay_alu instid0(VALU_DEP_1) | instskip(SKIP_1) | instid1(VALU_DEP_2)
	v_add_nc_u32_e32 v8, v8, v9
	v_mul_lo_u32 v9, s0, v2
	v_add_nc_u32_e32 v8, v8, v10
	s_delay_alu instid0(VALU_DEP_2) | instskip(NEXT) | instid1(VALU_DEP_2)
	v_mul_hi_u32 v10, v2, v9
	v_mul_lo_u32 v11, v2, v8
	v_mul_hi_u32 v12, v2, v8
	v_mul_hi_u32 v13, v3, v9
	v_mul_lo_u32 v9, v3, v9
	v_mul_hi_u32 v14, v3, v8
	v_mul_lo_u32 v8, v3, v8
	v_add_co_u32 v10, vcc_lo, v10, v11
	v_add_co_ci_u32_e32 v11, vcc_lo, 0, v12, vcc_lo
	s_delay_alu instid0(VALU_DEP_2) | instskip(NEXT) | instid1(VALU_DEP_2)
	v_add_co_u32 v9, vcc_lo, v10, v9
	v_add_co_ci_u32_e32 v9, vcc_lo, v11, v13, vcc_lo
	v_add_co_ci_u32_e32 v10, vcc_lo, 0, v14, vcc_lo
	s_delay_alu instid0(VALU_DEP_2) | instskip(NEXT) | instid1(VALU_DEP_2)
	v_add_co_u32 v8, vcc_lo, v9, v8
	v_add_co_ci_u32_e32 v9, vcc_lo, 0, v10, vcc_lo
	s_delay_alu instid0(VALU_DEP_2) | instskip(NEXT) | instid1(VALU_DEP_2)
	v_add_co_u32 v10, vcc_lo, v2, v8
	v_add_co_ci_u32_e32 v12, vcc_lo, v3, v9, vcc_lo
	s_delay_alu instid0(VALU_DEP_2) | instskip(SKIP_1) | instid1(VALU_DEP_3)
	v_mul_hi_u32 v13, v4, v10
	v_mad_u64_u32 v[8:9], null, v5, v10, 0
	v_mad_u64_u32 v[2:3], null, v4, v12, 0
	v_mad_u64_u32 v[10:11], null, v5, v12, 0
	s_delay_alu instid0(VALU_DEP_2) | instskip(NEXT) | instid1(VALU_DEP_3)
	v_add_co_u32 v2, vcc_lo, v13, v2
	v_add_co_ci_u32_e32 v3, vcc_lo, 0, v3, vcc_lo
	s_delay_alu instid0(VALU_DEP_2) | instskip(NEXT) | instid1(VALU_DEP_2)
	v_add_co_u32 v2, vcc_lo, v2, v8
	v_add_co_ci_u32_e32 v2, vcc_lo, v3, v9, vcc_lo
	v_add_co_ci_u32_e32 v3, vcc_lo, 0, v11, vcc_lo
	s_delay_alu instid0(VALU_DEP_2) | instskip(NEXT) | instid1(VALU_DEP_2)
	v_add_co_u32 v8, vcc_lo, v2, v10
	v_add_co_ci_u32_e32 v9, vcc_lo, 0, v3, vcc_lo
	s_delay_alu instid0(VALU_DEP_2) | instskip(SKIP_1) | instid1(VALU_DEP_3)
	v_mul_lo_u32 v10, s11, v8
	v_mad_u64_u32 v[2:3], null, s10, v8, 0
	v_mul_lo_u32 v11, s10, v9
	s_delay_alu instid0(VALU_DEP_2) | instskip(NEXT) | instid1(VALU_DEP_2)
	v_sub_co_u32 v2, vcc_lo, v4, v2
	v_add3_u32 v3, v3, v11, v10
	s_delay_alu instid0(VALU_DEP_1) | instskip(NEXT) | instid1(VALU_DEP_1)
	v_sub_nc_u32_e32 v10, v5, v3
	v_subrev_co_ci_u32_e64 v10, s0, s11, v10, vcc_lo
	v_add_co_u32 v11, s0, v8, 2
	s_delay_alu instid0(VALU_DEP_1) | instskip(SKIP_3) | instid1(VALU_DEP_3)
	v_add_co_ci_u32_e64 v12, s0, 0, v9, s0
	v_sub_co_u32 v13, s0, v2, s10
	v_sub_co_ci_u32_e32 v3, vcc_lo, v5, v3, vcc_lo
	v_subrev_co_ci_u32_e64 v10, s0, 0, v10, s0
	v_cmp_le_u32_e32 vcc_lo, s10, v13
	s_delay_alu instid0(VALU_DEP_3) | instskip(SKIP_1) | instid1(VALU_DEP_4)
	v_cmp_eq_u32_e64 s0, s11, v3
	v_cndmask_b32_e64 v13, 0, -1, vcc_lo
	v_cmp_le_u32_e32 vcc_lo, s11, v10
	v_cndmask_b32_e64 v14, 0, -1, vcc_lo
	v_cmp_le_u32_e32 vcc_lo, s10, v2
	;; [unrolled: 2-line block ×3, first 2 shown]
	v_cndmask_b32_e64 v15, 0, -1, vcc_lo
	v_cmp_eq_u32_e32 vcc_lo, s11, v10
	s_delay_alu instid0(VALU_DEP_2) | instskip(SKIP_3) | instid1(VALU_DEP_3)
	v_cndmask_b32_e64 v2, v15, v2, s0
	v_cndmask_b32_e32 v10, v14, v13, vcc_lo
	v_add_co_u32 v13, vcc_lo, v8, 1
	v_add_co_ci_u32_e32 v14, vcc_lo, 0, v9, vcc_lo
	v_cmp_ne_u32_e32 vcc_lo, 0, v10
	s_delay_alu instid0(VALU_DEP_2) | instskip(SKIP_1) | instid1(VALU_DEP_2)
	v_dual_cndmask_b32 v3, v14, v12 :: v_dual_cndmask_b32 v10, v13, v11
	v_cmp_ne_u32_e32 vcc_lo, 0, v2
	v_dual_cndmask_b32 v3, v9, v3 :: v_dual_cndmask_b32 v2, v8, v10
.LBB58_7:
	s_and_not1_saveexec_b32 s0, s1
	s_cbranch_execz .LBB58_9
; %bb.8:
	v_cvt_f32_u32_e32 v2, s10
	s_sub_i32 s1, 0, s10
	s_delay_alu instid0(VALU_DEP_1) | instskip(SKIP_2) | instid1(VALU_DEP_1)
	v_rcp_iflag_f32_e32 v2, v2
	s_waitcnt_depctr 0xfff
	v_mul_f32_e32 v2, 0x4f7ffffe, v2
	v_cvt_u32_f32_e32 v2, v2
	s_delay_alu instid0(VALU_DEP_1) | instskip(NEXT) | instid1(VALU_DEP_1)
	v_mul_lo_u32 v3, s1, v2
	v_mul_hi_u32 v3, v2, v3
	s_delay_alu instid0(VALU_DEP_1) | instskip(NEXT) | instid1(VALU_DEP_1)
	v_add_nc_u32_e32 v2, v2, v3
	v_mul_hi_u32 v2, v4, v2
	s_delay_alu instid0(VALU_DEP_1) | instskip(SKIP_1) | instid1(VALU_DEP_2)
	v_mul_lo_u32 v3, v2, s10
	v_add_nc_u32_e32 v8, 1, v2
	v_sub_nc_u32_e32 v3, v4, v3
	s_delay_alu instid0(VALU_DEP_1) | instskip(SKIP_1) | instid1(VALU_DEP_2)
	v_subrev_nc_u32_e32 v9, s10, v3
	v_cmp_le_u32_e32 vcc_lo, s10, v3
	v_dual_cndmask_b32 v3, v3, v9 :: v_dual_cndmask_b32 v2, v2, v8
	s_delay_alu instid0(VALU_DEP_1) | instskip(NEXT) | instid1(VALU_DEP_2)
	v_cmp_le_u32_e32 vcc_lo, s10, v3
	v_dual_mov_b32 v3, 0 :: v_dual_add_nc_u32 v8, 1, v2
	s_delay_alu instid0(VALU_DEP_1)
	v_cndmask_b32_e32 v2, v2, v8, vcc_lo
.LBB58_9:
	s_or_b32 exec_lo, exec_lo, s0
	s_delay_alu instid0(VALU_DEP_1) | instskip(NEXT) | instid1(VALU_DEP_2)
	v_mul_lo_u32 v12, v3, s10
	v_mul_lo_u32 v13, v2, s11
	v_mad_u64_u32 v[8:9], null, v2, s10, 0
	v_mad_u64_u32 v[10:11], null, v0, s6, v[2:3]
	v_mul_lo_u32 v0, v0, s7
	v_mul_lo_u32 v1, v1, s6
	s_delay_alu instid0(VALU_DEP_4) | instskip(NEXT) | instid1(VALU_DEP_2)
	v_add3_u32 v2, v9, v13, v12
	v_add3_u32 v3, v1, v11, v0
	v_sub_co_u32 v0, vcc_lo, v4, v8
	s_delay_alu instid0(VALU_DEP_3) | instskip(SKIP_1) | instid1(VALU_DEP_4)
	v_sub_co_ci_u32_e32 v1, vcc_lo, v5, v2, vcc_lo
	v_mul_lo_u32 v4, v10, s5
	v_mul_lo_u32 v5, v3, s4
                                        ; implicit-def: $vgpr8
	s_delay_alu instid0(VALU_DEP_3) | instskip(NEXT) | instid1(VALU_DEP_1)
	v_mad_u64_u32 v[2:3], null, v10, s4, v[0:1]
	v_add3_u32 v3, v5, v3, v4
	s_delay_alu instid0(VALU_DEP_2) | instskip(NEXT) | instid1(VALU_DEP_2)
	v_cvt_f64_u32_e32 v[4:5], v2
	v_cvt_f64_u32_e32 v[0:1], v3
	v_cmp_lt_u64_e32 vcc_lo, 0x3fffffff, v[2:3]
                                        ; implicit-def: $vgpr2_vgpr3
	s_delay_alu instid0(VALU_DEP_2) | instskip(NEXT) | instid1(VALU_DEP_1)
	v_ldexp_f64 v[0:1], v[0:1], 32
	v_add_f64 v[0:1], v[0:1], v[4:5]
                                        ; implicit-def: $vgpr4_vgpr5
	s_and_saveexec_b32 s0, vcc_lo
	s_delay_alu instid0(SALU_CYCLE_1)
	s_xor_b32 s1, exec_lo, s0
	s_cbranch_execz .LBB58_11
; %bb.10:
	s_delay_alu instid0(VALU_DEP_1)
	v_trig_preop_f64 v[2:3], v[0:1], 0
	v_trig_preop_f64 v[4:5], v[0:1], 1
	;; [unrolled: 1-line block ×3, first 2 shown]
	v_mov_b32_e32 v24, 0
	s_mov_b32 s2, 0x54442d18
	s_mov_b32 s3, 0x3ff921fb
	;; [unrolled: 1-line block ×4, first 2 shown]
	s_delay_alu instid0(VALU_DEP_4) | instskip(NEXT) | instid1(VALU_DEP_4)
	v_mul_f64 v[8:9], v[2:3], v[0:1]
	v_mul_f64 v[10:11], v[4:5], v[0:1]
	s_delay_alu instid0(VALU_DEP_4) | instskip(NEXT) | instid1(VALU_DEP_3)
	v_mul_f64 v[22:23], v[16:17], v[0:1]
	v_fma_f64 v[2:3], v[2:3], v[0:1], -v[8:9]
	s_delay_alu instid0(VALU_DEP_3) | instskip(NEXT) | instid1(VALU_DEP_3)
	v_fma_f64 v[4:5], v[4:5], v[0:1], -v[10:11]
	v_fma_f64 v[16:17], v[16:17], v[0:1], -v[22:23]
	s_delay_alu instid0(VALU_DEP_3) | instskip(NEXT) | instid1(VALU_DEP_1)
	v_add_f64 v[12:13], v[10:11], v[2:3]
	v_add_f64 v[14:15], v[12:13], -v[10:11]
	v_add_f64 v[20:21], v[8:9], v[12:13]
	s_delay_alu instid0(VALU_DEP_2) | instskip(SKIP_1) | instid1(VALU_DEP_3)
	v_add_f64 v[18:19], v[12:13], -v[14:15]
	v_add_f64 v[2:3], v[2:3], -v[14:15]
	v_ldexp_f64 v[14:15], v[20:21], -2
	v_add_f64 v[8:9], v[20:21], -v[8:9]
	s_delay_alu instid0(VALU_DEP_4) | instskip(SKIP_1) | instid1(VALU_DEP_4)
	v_add_f64 v[10:11], v[10:11], -v[18:19]
	v_add_f64 v[18:19], v[22:23], v[4:5]
	v_cmp_neq_f64_e64 vcc_lo, 0x7ff00000, |v[14:15]|
	s_delay_alu instid0(VALU_DEP_4) | instskip(NEXT) | instid1(VALU_DEP_4)
	v_add_f64 v[8:9], v[12:13], -v[8:9]
	v_add_f64 v[2:3], v[2:3], v[10:11]
	v_fract_f64_e32 v[10:11], v[14:15]
	s_delay_alu instid0(VALU_DEP_2) | instskip(NEXT) | instid1(VALU_DEP_2)
	v_add_f64 v[12:13], v[18:19], v[2:3]
	v_dual_cndmask_b32 v11, 0, v11 :: v_dual_cndmask_b32 v10, 0, v10
	s_delay_alu instid0(VALU_DEP_1) | instskip(NEXT) | instid1(VALU_DEP_3)
	v_ldexp_f64 v[10:11], v[10:11], 2
	v_add_f64 v[14:15], v[8:9], v[12:13]
	s_delay_alu instid0(VALU_DEP_1) | instskip(SKIP_1) | instid1(VALU_DEP_2)
	v_add_f64 v[20:21], v[14:15], v[10:11]
	v_add_f64 v[8:9], v[14:15], -v[8:9]
	v_cmp_gt_f64_e32 vcc_lo, 0, v[20:21]
	v_add_f64 v[20:21], v[18:19], -v[22:23]
	s_delay_alu instid0(VALU_DEP_3) | instskip(SKIP_1) | instid1(VALU_DEP_3)
	v_add_f64 v[8:9], v[12:13], -v[8:9]
	v_cndmask_b32_e64 v25, 0, 0x40100000, vcc_lo
	v_add_f64 v[29:30], v[18:19], -v[20:21]
	v_add_f64 v[4:5], v[4:5], -v[20:21]
	s_delay_alu instid0(VALU_DEP_3) | instskip(SKIP_1) | instid1(VALU_DEP_4)
	v_add_f64 v[10:11], v[10:11], v[24:25]
	v_add_f64 v[25:26], v[12:13], -v[18:19]
	v_add_f64 v[20:21], v[22:23], -v[29:30]
	s_delay_alu instid0(VALU_DEP_3) | instskip(NEXT) | instid1(VALU_DEP_3)
	v_add_f64 v[27:28], v[14:15], v[10:11]
	v_add_f64 v[31:32], v[12:13], -v[25:26]
	v_add_f64 v[2:3], v[2:3], -v[25:26]
	s_delay_alu instid0(VALU_DEP_4) | instskip(NEXT) | instid1(VALU_DEP_4)
	v_add_f64 v[4:5], v[4:5], v[20:21]
	v_cvt_i32_f64_e32 v27, v[27:28]
	s_delay_alu instid0(VALU_DEP_4) | instskip(NEXT) | instid1(VALU_DEP_2)
	v_add_f64 v[18:19], v[18:19], -v[31:32]
	v_cvt_f64_i32_e32 v[25:26], v27
	s_delay_alu instid0(VALU_DEP_2) | instskip(NEXT) | instid1(VALU_DEP_2)
	v_add_f64 v[2:3], v[2:3], v[18:19]
	v_add_f64 v[10:11], v[10:11], -v[25:26]
	s_delay_alu instid0(VALU_DEP_2) | instskip(NEXT) | instid1(VALU_DEP_2)
	v_add_f64 v[2:3], v[4:5], v[2:3]
	v_add_f64 v[4:5], v[14:15], v[10:11]
	s_delay_alu instid0(VALU_DEP_2) | instskip(NEXT) | instid1(VALU_DEP_2)
	v_add_f64 v[2:3], v[16:17], v[2:3]
	v_add_f64 v[10:11], v[4:5], -v[10:11]
	v_cmp_le_f64_e32 vcc_lo, 0.5, v[4:5]
	s_delay_alu instid0(VALU_DEP_3) | instskip(NEXT) | instid1(VALU_DEP_3)
	v_add_f64 v[2:3], v[8:9], v[2:3]
	v_add_f64 v[9:10], v[14:15], -v[10:11]
	v_cndmask_b32_e64 v25, 0, 0x3ff00000, vcc_lo
	v_add_co_ci_u32_e64 v8, s0, 0, v27, vcc_lo
	s_delay_alu instid0(VALU_DEP_2) | instskip(NEXT) | instid1(VALU_DEP_4)
	v_add_f64 v[4:5], v[4:5], -v[24:25]
	v_add_f64 v[2:3], v[2:3], v[9:10]
	s_delay_alu instid0(VALU_DEP_1) | instskip(NEXT) | instid1(VALU_DEP_1)
	v_add_f64 v[9:10], v[4:5], v[2:3]
	v_mul_f64 v[11:12], v[9:10], s[2:3]
	v_add_f64 v[4:5], v[9:10], -v[4:5]
	s_delay_alu instid0(VALU_DEP_2) | instskip(NEXT) | instid1(VALU_DEP_2)
	v_fma_f64 v[13:14], v[9:10], s[2:3], -v[11:12]
	v_add_f64 v[2:3], v[2:3], -v[4:5]
	s_delay_alu instid0(VALU_DEP_2) | instskip(NEXT) | instid1(VALU_DEP_1)
	v_fma_f64 v[4:5], v[9:10], s[4:5], v[13:14]
	v_fma_f64 v[4:5], v[2:3], s[2:3], v[4:5]
	s_delay_alu instid0(VALU_DEP_1) | instskip(NEXT) | instid1(VALU_DEP_1)
	v_add_f64 v[2:3], v[11:12], v[4:5]
	v_add_f64 v[9:10], v[2:3], -v[11:12]
	s_delay_alu instid0(VALU_DEP_1)
	v_add_f64 v[4:5], v[4:5], -v[9:10]
.LBB58_11:
	s_and_not1_saveexec_b32 s0, s1
	s_cbranch_execz .LBB58_13
; %bb.12:
	s_mov_b32 s2, 0x6dc9c883
	s_mov_b32 s3, 0x3fe45f30
	;; [unrolled: 1-line block ×3, first 2 shown]
	s_delay_alu instid0(VALU_DEP_1) | instskip(SKIP_3) | instid1(VALU_DEP_1)
	v_mul_f64 v[2:3], v[0:1], s[2:3]
	s_mov_b32 s2, 0x54442d18
	s_mov_b32 s3, 0xbff921fb
	;; [unrolled: 1-line block ×3, first 2 shown]
	v_rndne_f64_e32 v[8:9], v[2:3]
	s_delay_alu instid0(VALU_DEP_1) | instskip(SKIP_3) | instid1(VALU_DEP_2)
	v_fma_f64 v[2:3], v[8:9], s[2:3], v[0:1]
	v_mul_f64 v[4:5], v[8:9], s[4:5]
	s_mov_b32 s2, 0x252049c0
	s_mov_b32 s3, 0xb97b839a
	v_fma_f64 v[12:13], v[8:9], s[4:5], v[2:3]
	s_delay_alu instid0(VALU_DEP_2) | instskip(SKIP_1) | instid1(VALU_DEP_1)
	v_add_f64 v[10:11], v[2:3], v[4:5]
	s_mov_b32 s5, 0x3c91a626
	v_add_f64 v[2:3], v[2:3], -v[10:11]
	s_delay_alu instid0(VALU_DEP_3) | instskip(NEXT) | instid1(VALU_DEP_2)
	v_add_f64 v[10:11], v[10:11], -v[12:13]
	v_add_f64 v[2:3], v[2:3], v[4:5]
	v_fma_f64 v[4:5], v[8:9], s[4:5], v[4:5]
	s_delay_alu instid0(VALU_DEP_2) | instskip(NEXT) | instid1(VALU_DEP_1)
	v_add_f64 v[2:3], v[10:11], v[2:3]
	v_add_f64 v[2:3], v[2:3], -v[4:5]
	s_delay_alu instid0(VALU_DEP_1) | instskip(SKIP_1) | instid1(VALU_DEP_2)
	v_fma_f64 v[4:5], v[8:9], s[2:3], v[2:3]
	v_cvt_i32_f64_e32 v8, v[8:9]
	v_add_f64 v[2:3], v[12:13], v[4:5]
	s_delay_alu instid0(VALU_DEP_1) | instskip(NEXT) | instid1(VALU_DEP_1)
	v_add_f64 v[10:11], v[2:3], -v[12:13]
	v_add_f64 v[4:5], v[4:5], -v[10:11]
.LBB58_13:
	s_or_b32 exec_lo, exec_lo, s0
	v_mul_f64 v[9:10], v[2:3], v[2:3]
	s_mov_b32 s0, 0xb42fdfa7
	s_mov_b32 s2, 0xf9a43bb8
	;; [unrolled: 1-line block ×6, first 2 shown]
	s_delay_alu instid0(VALU_DEP_2) | instskip(SKIP_1) | instid1(VALU_DEP_1)
	v_mul_f64 v[19:20], v[4:5], 0.5
	v_lshlrev_b32_e32 v0, 30, v8
	v_xor_b32_e32 v0, v0, v1
	s_delay_alu instid0(VALU_DEP_4)
	v_fma_f64 v[11:12], v[9:10], s[2:3], s[0:1]
	s_mov_b32 s0, 0x9037ab78
	s_mov_b32 s2, 0x46cc5e42
	;; [unrolled: 1-line block ×4, first 2 shown]
	v_mul_f64 v[15:16], v[9:10], 0.5
	v_fma_f64 v[13:14], v[9:10], s[2:3], s[0:1]
	s_mov_b32 s0, 0xa17f65f6
	s_mov_b32 s2, 0x19e83e5c
	;; [unrolled: 1-line block ×4, first 2 shown]
	v_mul_f64 v[21:22], v[2:3], -v[9:10]
	s_delay_alu instid0(VALU_DEP_4) | instskip(NEXT) | instid1(VALU_DEP_4)
	v_fma_f64 v[11:12], v[9:10], v[11:12], s[4:5]
	v_add_f64 v[17:18], -v[15:16], 1.0
	s_delay_alu instid0(VALU_DEP_4) | instskip(SKIP_2) | instid1(VALU_DEP_3)
	v_fma_f64 v[13:14], v[9:10], v[13:14], s[0:1]
	s_mov_b32 s0, 0x19f4ec90
	s_mov_b32 s1, 0x3efa01a0
	v_fma_f64 v[11:12], v[9:10], v[11:12], s[2:3]
	s_mov_b32 s2, 0x11110bb3
	s_mov_b32 s3, 0x3f811111
	s_delay_alu instid0(VALU_DEP_3) | instskip(NEXT) | instid1(VALU_DEP_3)
	v_add_f64 v[23:24], -v[17:18], 1.0
	v_fma_f64 v[13:14], v[9:10], v[13:14], s[0:1]
	s_mov_b32 s0, 0x16c16967
	s_mov_b32 s1, 0xbf56c16c
	s_delay_alu instid0(VALU_DEP_3) | instskip(NEXT) | instid1(VALU_DEP_3)
	v_fma_f64 v[11:12], v[9:10], v[11:12], s[2:3]
	v_add_f64 v[15:16], v[23:24], -v[15:16]
	s_delay_alu instid0(VALU_DEP_3) | instskip(SKIP_2) | instid1(VALU_DEP_3)
	v_fma_f64 v[13:14], v[9:10], v[13:14], s[0:1]
	s_mov_b32 s1, 0x3fa55555
	s_mov_b32 s0, 0x55555555
	v_fma_f64 v[11:12], v[21:22], v[11:12], v[19:20]
	v_mul_f64 v[19:20], v[9:10], v[9:10]
	s_delay_alu instid0(VALU_DEP_4) | instskip(NEXT) | instid1(VALU_DEP_4)
	v_fma_f64 v[15:16], v[2:3], -v[4:5], v[15:16]
	v_fma_f64 v[13:14], v[9:10], v[13:14], s[0:1]
	s_mov_b32 s1, 0xbfc55555
	s_delay_alu instid0(VALU_DEP_4) | instskip(NEXT) | instid1(VALU_DEP_2)
	v_fma_f64 v[4:5], v[9:10], v[11:12], -v[4:5]
	v_fma_f64 v[9:10], v[19:20], v[13:14], v[15:16]
	s_delay_alu instid0(VALU_DEP_2) | instskip(SKIP_2) | instid1(VALU_DEP_2)
	v_fma_f64 v[4:5], v[21:22], s[0:1], v[4:5]
	s_mov_b32 s0, 0
	s_mov_b32 s1, 0x7ff00000
	v_add_f64 v[9:10], v[17:18], v[9:10]
	s_delay_alu instid0(VALU_DEP_2) | instskip(SKIP_1) | instid1(VALU_DEP_1)
	v_add_f64 v[2:3], v[2:3], -v[4:5]
	v_and_b32_e32 v4, 1, v8
	v_cmp_eq_u32_e32 vcc_lo, 0, v4
	s_delay_alu instid0(VALU_DEP_3) | instskip(NEXT) | instid1(VALU_DEP_4)
	v_dual_cndmask_b32 v0, v9, v2 :: v_dual_and_b32 v1, 0x80000000, v0
	v_cndmask_b32_e32 v2, v10, v3, vcc_lo
	s_delay_alu instid0(VALU_DEP_1) | instskip(NEXT) | instid1(VALU_DEP_1)
	v_xor_b32_e32 v1, v2, v1
	v_dual_mov_b32 v2, 0 :: v_dual_and_b32 v3, 0x7ff00000, v1
	s_delay_alu instid0(VALU_DEP_1) | instskip(SKIP_2) | instid1(SALU_CYCLE_1)
	v_cmp_ne_u64_e32 vcc_lo, s[0:1], v[2:3]
	s_mov_b32 s0, 1
                                        ; implicit-def: $vgpr2
	s_and_saveexec_b32 s1, vcc_lo
	s_xor_b32 s2, exec_lo, s1
	s_cbranch_execz .LBB58_25
; %bb.14:
	v_dual_mov_b32 v2, v0 :: v_dual_and_b32 v3, 0x7fffffff, v1
	s_mov_b32 s1, 0x40ec0000
	s_delay_alu instid0(VALU_DEP_1) | instid1(SALU_CYCLE_1)
	v_cmp_gt_u64_e32 vcc_lo, s[0:1], v[2:3]
                                        ; implicit-def: $vgpr2
	s_and_saveexec_b32 s0, vcc_lo
	s_delay_alu instid0(SALU_CYCLE_1)
	s_xor_b32 s3, exec_lo, s0
	s_cbranch_execz .LBB58_22
; %bb.15:
	v_mov_b32_e32 v2, 0
	s_mov_b32 s4, exec_lo
	v_cmpx_ne_u64_e32 0, v[0:1]
	s_cbranch_execz .LBB58_21
; %bb.16:
	v_bfe_u32 v12, v1, 20, 11
	v_and_b32_e32 v3, 0xfffff, v1
	s_delay_alu instid0(VALU_DEP_2) | instskip(SKIP_1) | instid1(VALU_DEP_2)
	v_sub_nc_u32_e64 v2, 0x3f0, v12 clamp
	v_cmp_eq_u32_e32 vcc_lo, 0, v12
	v_cndmask_b32_e64 v13, v2, 0x3ef, vcc_lo
	v_mov_b32_e32 v2, v0
	v_or_b32_e32 v4, 0x100000, v3
	s_delay_alu instid0(VALU_DEP_3) | instskip(NEXT) | instid1(VALU_DEP_2)
	v_add_nc_u32_e32 v5, 50, v13
	v_dual_cndmask_b32 v3, v4, v3 :: v_dual_add_nc_u32 v0, 49, v13
	s_delay_alu instid0(VALU_DEP_2) | instskip(NEXT) | instid1(VALU_DEP_2)
	v_lshlrev_b64 v[4:5], v5, -1
	v_lshlrev_b64 v[8:9], v0, 1
	s_delay_alu instid0(VALU_DEP_3) | instskip(SKIP_1) | instid1(VALU_DEP_4)
	v_lshrrev_b64 v[10:11], v13, v[2:3]
	v_add_nc_u32_e32 v0, 0xfffffc11, v12
	v_not_b32_e32 v14, v5
	v_not_b32_e32 v15, v4
	s_delay_alu instid0(VALU_DEP_4) | instskip(NEXT) | instid1(VALU_DEP_4)
	v_dual_mov_b32 v4, 0 :: v_dual_and_b32 v5, 0x40000, v11
	v_cndmask_b32_e64 v0, v0, 0xfffffc12, vcc_lo
	s_delay_alu instid0(VALU_DEP_4) | instskip(NEXT) | instid1(VALU_DEP_4)
	v_and_b32_e32 v3, v3, v14
	v_and_b32_e32 v2, v2, v15
	s_delay_alu instid0(VALU_DEP_4) | instskip(NEXT) | instid1(VALU_DEP_2)
	v_cmp_eq_u64_e64 s0, 0, v[4:5]
	v_cmp_eq_u64_e64 s1, v[2:3], v[8:9]
	v_lshrrev_b32_e32 v3, 20, v11
	s_delay_alu instid0(VALU_DEP_1) | instskip(NEXT) | instid1(VALU_DEP_3)
	v_add3_u32 v8, v0, v13, v3
	s_and_b32 s0, s0, s1
	s_delay_alu instid0(SALU_CYCLE_1) | instskip(SKIP_1) | instid1(VALU_DEP_2)
	v_cndmask_b32_e64 v2, 0, 1, s0
	s_mov_b32 s0, exec_lo
	v_add_nc_u32_e32 v9, -1, v8
	s_delay_alu instid0(VALU_DEP_2) | instskip(SKIP_1) | instid1(VALU_DEP_2)
	v_sub_co_u32 v2, vcc_lo, v10, v2
	v_subrev_co_ci_u32_e32 v5, vcc_lo, 0, v11, vcc_lo
	v_add_co_u32 v2, vcc_lo, v2, v10
	s_delay_alu instid0(VALU_DEP_2) | instskip(NEXT) | instid1(VALU_DEP_1)
	v_and_b32_e32 v0, 0x3ffff, v5
	v_add_co_ci_u32_e32 v3, vcc_lo, v0, v11, vcc_lo
                                        ; implicit-def: $vgpr0
	v_cmpx_ne_u32_e32 0, v9
	s_xor_b32 s0, exec_lo, s0
; %bb.17:
	s_delay_alu instid0(VALU_DEP_2) | instskip(SKIP_1) | instid1(VALU_DEP_2)
	v_and_b32_e32 v5, 0x200000, v3
	v_bfe_u32 v0, v3, 21, 1
	v_cmp_eq_u64_e32 vcc_lo, 0, v[4:5]
	s_delay_alu instid0(VALU_DEP_2)
	v_lshrrev_b64 v[2:3], v0, v[2:3]
	v_cndmask_b32_e32 v0, v8, v9, vcc_lo
; %bb.18:
	s_and_not1_saveexec_b32 s0, s0
; %bb.19:
	s_delay_alu instid0(VALU_DEP_2)
	v_bfe_u32 v0, v3, 20, 1
; %bb.20:
	s_or_b32 exec_lo, exec_lo, s0
	v_lshrrev_b32_e32 v1, 24, v1
	v_lshrrev_b32_e32 v2, 18, v3
	s_delay_alu instid0(VALU_DEP_3) | instskip(SKIP_4) | instid1(VALU_DEP_2)
	v_cmp_gt_i32_e32 vcc_lo, 32, v0
	v_min_i32_e32 v4, 31, v0
	v_cmp_eq_u32_e64 s0, 0, v0
	v_and_b32_e32 v3, 0x80, v1
	v_dual_cndmask_b32 v1, 3, v2 :: v_dual_mov_b32 v2, 0
	v_lshl_or_b32 v3, v4, 2, v3
	s_delay_alu instid0(VALU_DEP_2) | instskip(NEXT) | instid1(VALU_DEP_2)
	v_cmp_eq_u64_e32 vcc_lo, 0, v[1:2]
	v_and_or_b32 v0, v1, 3, v3
	s_and_b32 s0, s0, vcc_lo
	s_delay_alu instid0(VALU_DEP_1) | instid1(SALU_CYCLE_1)
	v_cndmask_b32_e64 v2, v0, 0, s0
.LBB58_21:
	s_or_b32 exec_lo, exec_lo, s4
                                        ; implicit-def: $vgpr0_vgpr1
.LBB58_22:
	s_and_not1_saveexec_b32 s0, s3
; %bb.23:
	v_lshrrev_b32_e32 v0, 24, v1
	s_delay_alu instid0(VALU_DEP_1)
	v_or_b32_e32 v2, 0x7f, v0
; %bb.24:
	s_or_b32 exec_lo, exec_lo, s0
                                        ; implicit-def: $vgpr0_vgpr1
.LBB58_25:
	s_and_not1_saveexec_b32 s0, s2
; %bb.26:
	v_lshrrev_b32_e32 v2, 24, v1
; %bb.27:
	s_or_b32 exec_lo, exec_lo, s0
	v_add_co_u32 v0, vcc_lo, s16, v6
	v_add_co_ci_u32_e32 v1, vcc_lo, s17, v7, vcc_lo
	global_store_b8 v[0:1], v2, off
.LBB58_28:
	s_nop 0
	s_sendmsg sendmsg(MSG_DEALLOC_VGPRS)
	s_endpgm
	.section	.rodata,"a",@progbits
	.p2align	6, 0x0
	.amdhsa_kernel _Z11fill_kernelI18hipblaslt_bf8_fnuzZ21hipblaslt_init_deviceIS0_Ev8ABC_dims24hipblaslt_initializationbPT_mmmmmEUlmE2_EvS5_mmT0_
		.amdhsa_group_segment_fixed_size 0
		.amdhsa_private_segment_fixed_size 0
		.amdhsa_kernarg_size 312
		.amdhsa_user_sgpr_count 15
		.amdhsa_user_sgpr_dispatch_ptr 0
		.amdhsa_user_sgpr_queue_ptr 0
		.amdhsa_user_sgpr_kernarg_segment_ptr 1
		.amdhsa_user_sgpr_dispatch_id 0
		.amdhsa_user_sgpr_private_segment_size 0
		.amdhsa_wavefront_size32 1
		.amdhsa_uses_dynamic_stack 0
		.amdhsa_enable_private_segment 0
		.amdhsa_system_sgpr_workgroup_id_x 1
		.amdhsa_system_sgpr_workgroup_id_y 0
		.amdhsa_system_sgpr_workgroup_id_z 0
		.amdhsa_system_sgpr_workgroup_info 0
		.amdhsa_system_vgpr_workitem_id 0
		.amdhsa_next_free_vgpr 33
		.amdhsa_next_free_sgpr 20
		.amdhsa_reserve_vcc 1
		.amdhsa_float_round_mode_32 0
		.amdhsa_float_round_mode_16_64 0
		.amdhsa_float_denorm_mode_32 3
		.amdhsa_float_denorm_mode_16_64 3
		.amdhsa_dx10_clamp 1
		.amdhsa_ieee_mode 1
		.amdhsa_fp16_overflow 0
		.amdhsa_workgroup_processor_mode 1
		.amdhsa_memory_ordered 1
		.amdhsa_forward_progress 0
		.amdhsa_shared_vgpr_count 0
		.amdhsa_exception_fp_ieee_invalid_op 0
		.amdhsa_exception_fp_denorm_src 0
		.amdhsa_exception_fp_ieee_div_zero 0
		.amdhsa_exception_fp_ieee_overflow 0
		.amdhsa_exception_fp_ieee_underflow 0
		.amdhsa_exception_fp_ieee_inexact 0
		.amdhsa_exception_int_div_zero 0
	.end_amdhsa_kernel
	.section	.text._Z11fill_kernelI18hipblaslt_bf8_fnuzZ21hipblaslt_init_deviceIS0_Ev8ABC_dims24hipblaslt_initializationbPT_mmmmmEUlmE2_EvS5_mmT0_,"axG",@progbits,_Z11fill_kernelI18hipblaslt_bf8_fnuzZ21hipblaslt_init_deviceIS0_Ev8ABC_dims24hipblaslt_initializationbPT_mmmmmEUlmE2_EvS5_mmT0_,comdat
.Lfunc_end58:
	.size	_Z11fill_kernelI18hipblaslt_bf8_fnuzZ21hipblaslt_init_deviceIS0_Ev8ABC_dims24hipblaslt_initializationbPT_mmmmmEUlmE2_EvS5_mmT0_, .Lfunc_end58-_Z11fill_kernelI18hipblaslt_bf8_fnuzZ21hipblaslt_init_deviceIS0_Ev8ABC_dims24hipblaslt_initializationbPT_mmmmmEUlmE2_EvS5_mmT0_
                                        ; -- End function
	.section	.AMDGPU.csdata,"",@progbits
; Kernel info:
; codeLenInByte = 4128
; NumSgprs: 22
; NumVgprs: 33
; ScratchSize: 0
; MemoryBound: 0
; FloatMode: 240
; IeeeMode: 1
; LDSByteSize: 0 bytes/workgroup (compile time only)
; SGPRBlocks: 2
; VGPRBlocks: 4
; NumSGPRsForWavesPerEU: 22
; NumVGPRsForWavesPerEU: 33
; Occupancy: 16
; WaveLimiterHint : 0
; COMPUTE_PGM_RSRC2:SCRATCH_EN: 0
; COMPUTE_PGM_RSRC2:USER_SGPR: 15
; COMPUTE_PGM_RSRC2:TRAP_HANDLER: 0
; COMPUTE_PGM_RSRC2:TGID_X_EN: 1
; COMPUTE_PGM_RSRC2:TGID_Y_EN: 0
; COMPUTE_PGM_RSRC2:TGID_Z_EN: 0
; COMPUTE_PGM_RSRC2:TIDIG_COMP_CNT: 0
	.section	.text._Z11fill_kernelI18hipblaslt_bf8_fnuzZ21hipblaslt_init_deviceIS0_Ev8ABC_dims24hipblaslt_initializationbPT_mmmmmEUlmE3_EvS5_mmT0_,"axG",@progbits,_Z11fill_kernelI18hipblaslt_bf8_fnuzZ21hipblaslt_init_deviceIS0_Ev8ABC_dims24hipblaslt_initializationbPT_mmmmmEUlmE3_EvS5_mmT0_,comdat
	.protected	_Z11fill_kernelI18hipblaslt_bf8_fnuzZ21hipblaslt_init_deviceIS0_Ev8ABC_dims24hipblaslt_initializationbPT_mmmmmEUlmE3_EvS5_mmT0_ ; -- Begin function _Z11fill_kernelI18hipblaslt_bf8_fnuzZ21hipblaslt_init_deviceIS0_Ev8ABC_dims24hipblaslt_initializationbPT_mmmmmEUlmE3_EvS5_mmT0_
	.globl	_Z11fill_kernelI18hipblaslt_bf8_fnuzZ21hipblaslt_init_deviceIS0_Ev8ABC_dims24hipblaslt_initializationbPT_mmmmmEUlmE3_EvS5_mmT0_
	.p2align	8
	.type	_Z11fill_kernelI18hipblaslt_bf8_fnuzZ21hipblaslt_init_deviceIS0_Ev8ABC_dims24hipblaslt_initializationbPT_mmmmmEUlmE3_EvS5_mmT0_,@function
_Z11fill_kernelI18hipblaslt_bf8_fnuzZ21hipblaslt_init_deviceIS0_Ev8ABC_dims24hipblaslt_initializationbPT_mmmmmEUlmE3_EvS5_mmT0_: ; @_Z11fill_kernelI18hipblaslt_bf8_fnuzZ21hipblaslt_init_deviceIS0_Ev8ABC_dims24hipblaslt_initializationbPT_mmmmmEUlmE3_EvS5_mmT0_
; %bb.0:
	s_clause 0x1
	s_load_b32 s2, s[0:1], 0x44
	s_load_b128 s[16:19], s[0:1], 0x0
	s_waitcnt lgkmcnt(0)
	s_and_b32 s2, s2, 0xffff
	s_delay_alu instid0(SALU_CYCLE_1) | instskip(SKIP_2) | instid1(VALU_DEP_1)
	v_mad_u64_u32 v[1:2], null, s15, s2, v[0:1]
	v_mov_b32_e32 v2, 0
	s_mov_b32 s2, exec_lo
	v_cmpx_gt_u64_e64 s[18:19], v[1:2]
	s_cbranch_execz .LBB59_28
; %bb.1:
	s_clause 0x1
	s_load_b64 s[2:3], s[0:1], 0x10
	s_load_b256 s[4:11], s[0:1], 0x18
	v_mov_b32_e32 v0, v2
	s_waitcnt lgkmcnt(0)
	v_add_co_u32 v6, s0, v1, s2
	s_delay_alu instid0(VALU_DEP_1) | instskip(NEXT) | instid1(VALU_DEP_1)
	v_add_co_ci_u32_e64 v7, null, 0, s3, s0
	v_or_b32_e32 v1, s9, v7
	s_delay_alu instid0(VALU_DEP_1) | instskip(SKIP_1) | instid1(SALU_CYCLE_1)
	v_cmp_ne_u64_e32 vcc_lo, 0, v[0:1]
                                        ; implicit-def: $vgpr0_vgpr1
	s_and_saveexec_b32 s0, vcc_lo
	s_xor_b32 s1, exec_lo, s0
	s_cbranch_execz .LBB59_3
; %bb.2:
	v_cvt_f32_u32_e32 v0, s8
	v_cvt_f32_u32_e32 v1, s9
	s_sub_u32 s0, 0, s8
	s_subb_u32 s2, 0, s9
	s_delay_alu instid0(VALU_DEP_1) | instskip(NEXT) | instid1(VALU_DEP_1)
	v_fmamk_f32 v0, v1, 0x4f800000, v0
	v_rcp_f32_e32 v0, v0
	s_waitcnt_depctr 0xfff
	v_mul_f32_e32 v0, 0x5f7ffffc, v0
	s_delay_alu instid0(VALU_DEP_1) | instskip(NEXT) | instid1(VALU_DEP_1)
	v_mul_f32_e32 v1, 0x2f800000, v0
	v_trunc_f32_e32 v1, v1
	s_delay_alu instid0(VALU_DEP_1) | instskip(SKIP_1) | instid1(VALU_DEP_2)
	v_fmamk_f32 v0, v1, 0xcf800000, v0
	v_cvt_u32_f32_e32 v1, v1
	v_cvt_u32_f32_e32 v0, v0
	s_delay_alu instid0(VALU_DEP_2) | instskip(NEXT) | instid1(VALU_DEP_2)
	v_mul_lo_u32 v2, s0, v1
	v_mul_hi_u32 v3, s0, v0
	v_mul_lo_u32 v4, s2, v0
	s_delay_alu instid0(VALU_DEP_2) | instskip(SKIP_1) | instid1(VALU_DEP_2)
	v_add_nc_u32_e32 v2, v3, v2
	v_mul_lo_u32 v3, s0, v0
	v_add_nc_u32_e32 v2, v2, v4
	s_delay_alu instid0(VALU_DEP_2) | instskip(NEXT) | instid1(VALU_DEP_2)
	v_mul_hi_u32 v4, v0, v3
	v_mul_lo_u32 v5, v0, v2
	v_mul_hi_u32 v8, v0, v2
	v_mul_hi_u32 v9, v1, v3
	v_mul_lo_u32 v3, v1, v3
	v_mul_hi_u32 v10, v1, v2
	v_mul_lo_u32 v2, v1, v2
	v_add_co_u32 v4, vcc_lo, v4, v5
	v_add_co_ci_u32_e32 v5, vcc_lo, 0, v8, vcc_lo
	s_delay_alu instid0(VALU_DEP_2) | instskip(NEXT) | instid1(VALU_DEP_2)
	v_add_co_u32 v3, vcc_lo, v4, v3
	v_add_co_ci_u32_e32 v3, vcc_lo, v5, v9, vcc_lo
	v_add_co_ci_u32_e32 v4, vcc_lo, 0, v10, vcc_lo
	s_delay_alu instid0(VALU_DEP_2) | instskip(NEXT) | instid1(VALU_DEP_2)
	v_add_co_u32 v2, vcc_lo, v3, v2
	v_add_co_ci_u32_e32 v3, vcc_lo, 0, v4, vcc_lo
	s_delay_alu instid0(VALU_DEP_2) | instskip(NEXT) | instid1(VALU_DEP_2)
	v_add_co_u32 v0, vcc_lo, v0, v2
	v_add_co_ci_u32_e32 v1, vcc_lo, v1, v3, vcc_lo
	s_delay_alu instid0(VALU_DEP_2) | instskip(SKIP_1) | instid1(VALU_DEP_3)
	v_mul_hi_u32 v2, s0, v0
	v_mul_lo_u32 v4, s2, v0
	v_mul_lo_u32 v3, s0, v1
	s_delay_alu instid0(VALU_DEP_1) | instskip(SKIP_1) | instid1(VALU_DEP_2)
	v_add_nc_u32_e32 v2, v2, v3
	v_mul_lo_u32 v3, s0, v0
	v_add_nc_u32_e32 v2, v2, v4
	s_delay_alu instid0(VALU_DEP_2) | instskip(NEXT) | instid1(VALU_DEP_2)
	v_mul_hi_u32 v4, v0, v3
	v_mul_lo_u32 v5, v0, v2
	v_mul_hi_u32 v8, v0, v2
	v_mul_hi_u32 v9, v1, v3
	v_mul_lo_u32 v3, v1, v3
	v_mul_hi_u32 v10, v1, v2
	v_mul_lo_u32 v2, v1, v2
	v_add_co_u32 v4, vcc_lo, v4, v5
	v_add_co_ci_u32_e32 v5, vcc_lo, 0, v8, vcc_lo
	s_delay_alu instid0(VALU_DEP_2) | instskip(NEXT) | instid1(VALU_DEP_2)
	v_add_co_u32 v3, vcc_lo, v4, v3
	v_add_co_ci_u32_e32 v3, vcc_lo, v5, v9, vcc_lo
	v_add_co_ci_u32_e32 v4, vcc_lo, 0, v10, vcc_lo
	s_delay_alu instid0(VALU_DEP_2) | instskip(NEXT) | instid1(VALU_DEP_2)
	v_add_co_u32 v2, vcc_lo, v3, v2
	v_add_co_ci_u32_e32 v3, vcc_lo, 0, v4, vcc_lo
	s_delay_alu instid0(VALU_DEP_2) | instskip(NEXT) | instid1(VALU_DEP_2)
	v_add_co_u32 v4, vcc_lo, v0, v2
	v_add_co_ci_u32_e32 v8, vcc_lo, v1, v3, vcc_lo
	s_delay_alu instid0(VALU_DEP_2) | instskip(SKIP_1) | instid1(VALU_DEP_3)
	v_mul_hi_u32 v9, v6, v4
	v_mad_u64_u32 v[2:3], null, v7, v4, 0
	v_mad_u64_u32 v[0:1], null, v6, v8, 0
	;; [unrolled: 1-line block ×3, first 2 shown]
	s_delay_alu instid0(VALU_DEP_2) | instskip(NEXT) | instid1(VALU_DEP_3)
	v_add_co_u32 v0, vcc_lo, v9, v0
	v_add_co_ci_u32_e32 v1, vcc_lo, 0, v1, vcc_lo
	s_delay_alu instid0(VALU_DEP_2) | instskip(NEXT) | instid1(VALU_DEP_2)
	v_add_co_u32 v0, vcc_lo, v0, v2
	v_add_co_ci_u32_e32 v0, vcc_lo, v1, v3, vcc_lo
	v_add_co_ci_u32_e32 v1, vcc_lo, 0, v5, vcc_lo
	s_delay_alu instid0(VALU_DEP_2) | instskip(NEXT) | instid1(VALU_DEP_2)
	v_add_co_u32 v2, vcc_lo, v0, v4
	v_add_co_ci_u32_e32 v3, vcc_lo, 0, v1, vcc_lo
	s_delay_alu instid0(VALU_DEP_2) | instskip(SKIP_1) | instid1(VALU_DEP_3)
	v_mul_lo_u32 v4, s9, v2
	v_mad_u64_u32 v[0:1], null, s8, v2, 0
	v_mul_lo_u32 v5, s8, v3
	s_delay_alu instid0(VALU_DEP_2) | instskip(NEXT) | instid1(VALU_DEP_2)
	v_sub_co_u32 v0, vcc_lo, v6, v0
	v_add3_u32 v1, v1, v5, v4
	s_delay_alu instid0(VALU_DEP_1) | instskip(NEXT) | instid1(VALU_DEP_1)
	v_sub_nc_u32_e32 v4, v7, v1
	v_subrev_co_ci_u32_e64 v4, s0, s9, v4, vcc_lo
	v_add_co_u32 v5, s0, v2, 2
	s_delay_alu instid0(VALU_DEP_1) | instskip(SKIP_3) | instid1(VALU_DEP_3)
	v_add_co_ci_u32_e64 v8, s0, 0, v3, s0
	v_sub_co_u32 v9, s0, v0, s8
	v_sub_co_ci_u32_e32 v1, vcc_lo, v7, v1, vcc_lo
	v_subrev_co_ci_u32_e64 v4, s0, 0, v4, s0
	v_cmp_le_u32_e32 vcc_lo, s8, v9
	s_delay_alu instid0(VALU_DEP_3) | instskip(SKIP_1) | instid1(VALU_DEP_4)
	v_cmp_eq_u32_e64 s0, s9, v1
	v_cndmask_b32_e64 v9, 0, -1, vcc_lo
	v_cmp_le_u32_e32 vcc_lo, s9, v4
	v_cndmask_b32_e64 v10, 0, -1, vcc_lo
	v_cmp_le_u32_e32 vcc_lo, s8, v0
	;; [unrolled: 2-line block ×3, first 2 shown]
	v_cndmask_b32_e64 v11, 0, -1, vcc_lo
	v_cmp_eq_u32_e32 vcc_lo, s9, v4
	s_delay_alu instid0(VALU_DEP_2) | instskip(SKIP_3) | instid1(VALU_DEP_3)
	v_cndmask_b32_e64 v0, v11, v0, s0
	v_cndmask_b32_e32 v4, v10, v9, vcc_lo
	v_add_co_u32 v9, vcc_lo, v2, 1
	v_add_co_ci_u32_e32 v10, vcc_lo, 0, v3, vcc_lo
	v_cmp_ne_u32_e32 vcc_lo, 0, v4
	s_delay_alu instid0(VALU_DEP_2) | instskip(SKIP_1) | instid1(VALU_DEP_2)
	v_dual_cndmask_b32 v1, v10, v8 :: v_dual_cndmask_b32 v4, v9, v5
	v_cmp_ne_u32_e32 vcc_lo, 0, v0
	v_dual_cndmask_b32 v1, v3, v1 :: v_dual_cndmask_b32 v0, v2, v4
.LBB59_3:
	s_and_not1_saveexec_b32 s0, s1
	s_cbranch_execz .LBB59_5
; %bb.4:
	v_cvt_f32_u32_e32 v0, s8
	s_sub_i32 s1, 0, s8
	s_delay_alu instid0(VALU_DEP_1) | instskip(SKIP_2) | instid1(VALU_DEP_1)
	v_rcp_iflag_f32_e32 v0, v0
	s_waitcnt_depctr 0xfff
	v_mul_f32_e32 v0, 0x4f7ffffe, v0
	v_cvt_u32_f32_e32 v0, v0
	s_delay_alu instid0(VALU_DEP_1) | instskip(NEXT) | instid1(VALU_DEP_1)
	v_mul_lo_u32 v1, s1, v0
	v_mul_hi_u32 v1, v0, v1
	s_delay_alu instid0(VALU_DEP_1) | instskip(NEXT) | instid1(VALU_DEP_1)
	v_add_nc_u32_e32 v0, v0, v1
	v_mul_hi_u32 v0, v6, v0
	s_delay_alu instid0(VALU_DEP_1) | instskip(SKIP_1) | instid1(VALU_DEP_2)
	v_mul_lo_u32 v1, v0, s8
	v_add_nc_u32_e32 v2, 1, v0
	v_sub_nc_u32_e32 v1, v6, v1
	s_delay_alu instid0(VALU_DEP_1) | instskip(SKIP_1) | instid1(VALU_DEP_2)
	v_subrev_nc_u32_e32 v3, s8, v1
	v_cmp_le_u32_e32 vcc_lo, s8, v1
	v_dual_cndmask_b32 v1, v1, v3 :: v_dual_cndmask_b32 v0, v0, v2
	s_delay_alu instid0(VALU_DEP_1) | instskip(NEXT) | instid1(VALU_DEP_2)
	v_cmp_le_u32_e32 vcc_lo, s8, v1
	v_dual_mov_b32 v1, 0 :: v_dual_add_nc_u32 v2, 1, v0
	s_delay_alu instid0(VALU_DEP_1)
	v_cndmask_b32_e32 v0, v0, v2, vcc_lo
.LBB59_5:
	s_or_b32 exec_lo, exec_lo, s0
	s_delay_alu instid0(VALU_DEP_1) | instskip(NEXT) | instid1(VALU_DEP_2)
	v_mul_lo_u32 v4, v1, s8
	v_mul_lo_u32 v5, v0, s9
	v_mad_u64_u32 v[2:3], null, v0, s8, 0
	s_delay_alu instid0(VALU_DEP_1) | instskip(NEXT) | instid1(VALU_DEP_2)
	v_add3_u32 v3, v3, v5, v4
	v_sub_co_u32 v4, vcc_lo, v6, v2
	v_mov_b32_e32 v2, 0
	s_delay_alu instid0(VALU_DEP_3) | instskip(NEXT) | instid1(VALU_DEP_1)
	v_sub_co_ci_u32_e32 v5, vcc_lo, v7, v3, vcc_lo
	v_or_b32_e32 v3, s11, v5
	s_delay_alu instid0(VALU_DEP_1) | instskip(SKIP_1) | instid1(SALU_CYCLE_1)
	v_cmp_ne_u64_e32 vcc_lo, 0, v[2:3]
                                        ; implicit-def: $vgpr2_vgpr3
	s_and_saveexec_b32 s0, vcc_lo
	s_xor_b32 s1, exec_lo, s0
	s_cbranch_execz .LBB59_7
; %bb.6:
	v_cvt_f32_u32_e32 v2, s10
	v_cvt_f32_u32_e32 v3, s11
	s_sub_u32 s0, 0, s10
	s_subb_u32 s2, 0, s11
	s_delay_alu instid0(VALU_DEP_1) | instskip(NEXT) | instid1(VALU_DEP_1)
	v_fmamk_f32 v2, v3, 0x4f800000, v2
	v_rcp_f32_e32 v2, v2
	s_waitcnt_depctr 0xfff
	v_mul_f32_e32 v2, 0x5f7ffffc, v2
	s_delay_alu instid0(VALU_DEP_1) | instskip(NEXT) | instid1(VALU_DEP_1)
	v_mul_f32_e32 v3, 0x2f800000, v2
	v_trunc_f32_e32 v3, v3
	s_delay_alu instid0(VALU_DEP_1) | instskip(SKIP_1) | instid1(VALU_DEP_2)
	v_fmamk_f32 v2, v3, 0xcf800000, v2
	v_cvt_u32_f32_e32 v3, v3
	v_cvt_u32_f32_e32 v2, v2
	s_delay_alu instid0(VALU_DEP_2) | instskip(NEXT) | instid1(VALU_DEP_2)
	v_mul_lo_u32 v8, s0, v3
	v_mul_hi_u32 v9, s0, v2
	v_mul_lo_u32 v10, s2, v2
	s_delay_alu instid0(VALU_DEP_2) | instskip(SKIP_1) | instid1(VALU_DEP_2)
	v_add_nc_u32_e32 v8, v9, v8
	v_mul_lo_u32 v9, s0, v2
	v_add_nc_u32_e32 v8, v8, v10
	s_delay_alu instid0(VALU_DEP_2) | instskip(NEXT) | instid1(VALU_DEP_2)
	v_mul_hi_u32 v10, v2, v9
	v_mul_lo_u32 v11, v2, v8
	v_mul_hi_u32 v12, v2, v8
	v_mul_hi_u32 v13, v3, v9
	v_mul_lo_u32 v9, v3, v9
	v_mul_hi_u32 v14, v3, v8
	v_mul_lo_u32 v8, v3, v8
	v_add_co_u32 v10, vcc_lo, v10, v11
	v_add_co_ci_u32_e32 v11, vcc_lo, 0, v12, vcc_lo
	s_delay_alu instid0(VALU_DEP_2) | instskip(NEXT) | instid1(VALU_DEP_2)
	v_add_co_u32 v9, vcc_lo, v10, v9
	v_add_co_ci_u32_e32 v9, vcc_lo, v11, v13, vcc_lo
	v_add_co_ci_u32_e32 v10, vcc_lo, 0, v14, vcc_lo
	s_delay_alu instid0(VALU_DEP_2) | instskip(NEXT) | instid1(VALU_DEP_2)
	v_add_co_u32 v8, vcc_lo, v9, v8
	v_add_co_ci_u32_e32 v9, vcc_lo, 0, v10, vcc_lo
	s_delay_alu instid0(VALU_DEP_2) | instskip(NEXT) | instid1(VALU_DEP_2)
	v_add_co_u32 v2, vcc_lo, v2, v8
	v_add_co_ci_u32_e32 v3, vcc_lo, v3, v9, vcc_lo
	s_delay_alu instid0(VALU_DEP_2) | instskip(SKIP_1) | instid1(VALU_DEP_3)
	v_mul_hi_u32 v8, s0, v2
	v_mul_lo_u32 v10, s2, v2
	v_mul_lo_u32 v9, s0, v3
	s_delay_alu instid0(VALU_DEP_1) | instskip(SKIP_1) | instid1(VALU_DEP_2)
	v_add_nc_u32_e32 v8, v8, v9
	v_mul_lo_u32 v9, s0, v2
	v_add_nc_u32_e32 v8, v8, v10
	s_delay_alu instid0(VALU_DEP_2) | instskip(NEXT) | instid1(VALU_DEP_2)
	v_mul_hi_u32 v10, v2, v9
	v_mul_lo_u32 v11, v2, v8
	v_mul_hi_u32 v12, v2, v8
	v_mul_hi_u32 v13, v3, v9
	v_mul_lo_u32 v9, v3, v9
	v_mul_hi_u32 v14, v3, v8
	v_mul_lo_u32 v8, v3, v8
	v_add_co_u32 v10, vcc_lo, v10, v11
	v_add_co_ci_u32_e32 v11, vcc_lo, 0, v12, vcc_lo
	s_delay_alu instid0(VALU_DEP_2) | instskip(NEXT) | instid1(VALU_DEP_2)
	v_add_co_u32 v9, vcc_lo, v10, v9
	v_add_co_ci_u32_e32 v9, vcc_lo, v11, v13, vcc_lo
	v_add_co_ci_u32_e32 v10, vcc_lo, 0, v14, vcc_lo
	s_delay_alu instid0(VALU_DEP_2) | instskip(NEXT) | instid1(VALU_DEP_2)
	v_add_co_u32 v8, vcc_lo, v9, v8
	v_add_co_ci_u32_e32 v9, vcc_lo, 0, v10, vcc_lo
	s_delay_alu instid0(VALU_DEP_2) | instskip(NEXT) | instid1(VALU_DEP_2)
	v_add_co_u32 v10, vcc_lo, v2, v8
	v_add_co_ci_u32_e32 v12, vcc_lo, v3, v9, vcc_lo
	s_delay_alu instid0(VALU_DEP_2) | instskip(SKIP_1) | instid1(VALU_DEP_3)
	v_mul_hi_u32 v13, v4, v10
	v_mad_u64_u32 v[8:9], null, v5, v10, 0
	v_mad_u64_u32 v[2:3], null, v4, v12, 0
	;; [unrolled: 1-line block ×3, first 2 shown]
	s_delay_alu instid0(VALU_DEP_2) | instskip(NEXT) | instid1(VALU_DEP_3)
	v_add_co_u32 v2, vcc_lo, v13, v2
	v_add_co_ci_u32_e32 v3, vcc_lo, 0, v3, vcc_lo
	s_delay_alu instid0(VALU_DEP_2) | instskip(NEXT) | instid1(VALU_DEP_2)
	v_add_co_u32 v2, vcc_lo, v2, v8
	v_add_co_ci_u32_e32 v2, vcc_lo, v3, v9, vcc_lo
	v_add_co_ci_u32_e32 v3, vcc_lo, 0, v11, vcc_lo
	s_delay_alu instid0(VALU_DEP_2) | instskip(NEXT) | instid1(VALU_DEP_2)
	v_add_co_u32 v8, vcc_lo, v2, v10
	v_add_co_ci_u32_e32 v9, vcc_lo, 0, v3, vcc_lo
	s_delay_alu instid0(VALU_DEP_2) | instskip(SKIP_1) | instid1(VALU_DEP_3)
	v_mul_lo_u32 v10, s11, v8
	v_mad_u64_u32 v[2:3], null, s10, v8, 0
	v_mul_lo_u32 v11, s10, v9
	s_delay_alu instid0(VALU_DEP_2) | instskip(NEXT) | instid1(VALU_DEP_2)
	v_sub_co_u32 v2, vcc_lo, v4, v2
	v_add3_u32 v3, v3, v11, v10
	s_delay_alu instid0(VALU_DEP_1) | instskip(NEXT) | instid1(VALU_DEP_1)
	v_sub_nc_u32_e32 v10, v5, v3
	v_subrev_co_ci_u32_e64 v10, s0, s11, v10, vcc_lo
	v_add_co_u32 v11, s0, v8, 2
	s_delay_alu instid0(VALU_DEP_1) | instskip(SKIP_3) | instid1(VALU_DEP_3)
	v_add_co_ci_u32_e64 v12, s0, 0, v9, s0
	v_sub_co_u32 v13, s0, v2, s10
	v_sub_co_ci_u32_e32 v3, vcc_lo, v5, v3, vcc_lo
	v_subrev_co_ci_u32_e64 v10, s0, 0, v10, s0
	v_cmp_le_u32_e32 vcc_lo, s10, v13
	s_delay_alu instid0(VALU_DEP_3) | instskip(SKIP_1) | instid1(VALU_DEP_4)
	v_cmp_eq_u32_e64 s0, s11, v3
	v_cndmask_b32_e64 v13, 0, -1, vcc_lo
	v_cmp_le_u32_e32 vcc_lo, s11, v10
	v_cndmask_b32_e64 v14, 0, -1, vcc_lo
	v_cmp_le_u32_e32 vcc_lo, s10, v2
	;; [unrolled: 2-line block ×3, first 2 shown]
	v_cndmask_b32_e64 v15, 0, -1, vcc_lo
	v_cmp_eq_u32_e32 vcc_lo, s11, v10
	s_delay_alu instid0(VALU_DEP_2) | instskip(SKIP_3) | instid1(VALU_DEP_3)
	v_cndmask_b32_e64 v2, v15, v2, s0
	v_cndmask_b32_e32 v10, v14, v13, vcc_lo
	v_add_co_u32 v13, vcc_lo, v8, 1
	v_add_co_ci_u32_e32 v14, vcc_lo, 0, v9, vcc_lo
	v_cmp_ne_u32_e32 vcc_lo, 0, v10
	s_delay_alu instid0(VALU_DEP_2) | instskip(SKIP_1) | instid1(VALU_DEP_2)
	v_dual_cndmask_b32 v3, v14, v12 :: v_dual_cndmask_b32 v10, v13, v11
	v_cmp_ne_u32_e32 vcc_lo, 0, v2
	v_dual_cndmask_b32 v3, v9, v3 :: v_dual_cndmask_b32 v2, v8, v10
.LBB59_7:
	s_and_not1_saveexec_b32 s0, s1
	s_cbranch_execz .LBB59_9
; %bb.8:
	v_cvt_f32_u32_e32 v2, s10
	s_sub_i32 s1, 0, s10
	s_delay_alu instid0(VALU_DEP_1) | instskip(SKIP_2) | instid1(VALU_DEP_1)
	v_rcp_iflag_f32_e32 v2, v2
	s_waitcnt_depctr 0xfff
	v_mul_f32_e32 v2, 0x4f7ffffe, v2
	v_cvt_u32_f32_e32 v2, v2
	s_delay_alu instid0(VALU_DEP_1) | instskip(NEXT) | instid1(VALU_DEP_1)
	v_mul_lo_u32 v3, s1, v2
	v_mul_hi_u32 v3, v2, v3
	s_delay_alu instid0(VALU_DEP_1) | instskip(NEXT) | instid1(VALU_DEP_1)
	v_add_nc_u32_e32 v2, v2, v3
	v_mul_hi_u32 v2, v4, v2
	s_delay_alu instid0(VALU_DEP_1) | instskip(SKIP_1) | instid1(VALU_DEP_2)
	v_mul_lo_u32 v3, v2, s10
	v_add_nc_u32_e32 v8, 1, v2
	v_sub_nc_u32_e32 v3, v4, v3
	s_delay_alu instid0(VALU_DEP_1) | instskip(SKIP_1) | instid1(VALU_DEP_2)
	v_subrev_nc_u32_e32 v9, s10, v3
	v_cmp_le_u32_e32 vcc_lo, s10, v3
	v_dual_cndmask_b32 v3, v3, v9 :: v_dual_cndmask_b32 v2, v2, v8
	s_delay_alu instid0(VALU_DEP_1) | instskip(NEXT) | instid1(VALU_DEP_2)
	v_cmp_le_u32_e32 vcc_lo, s10, v3
	v_dual_mov_b32 v3, 0 :: v_dual_add_nc_u32 v8, 1, v2
	s_delay_alu instid0(VALU_DEP_1)
	v_cndmask_b32_e32 v2, v2, v8, vcc_lo
.LBB59_9:
	s_or_b32 exec_lo, exec_lo, s0
	s_delay_alu instid0(VALU_DEP_1) | instskip(NEXT) | instid1(VALU_DEP_2)
	v_mul_lo_u32 v12, v3, s10
	v_mul_lo_u32 v13, v2, s11
	v_mad_u64_u32 v[8:9], null, v2, s10, 0
	v_mad_u64_u32 v[10:11], null, v0, s6, v[2:3]
	v_mul_lo_u32 v0, v0, s7
	v_mul_lo_u32 v1, v1, s6
	s_delay_alu instid0(VALU_DEP_4) | instskip(NEXT) | instid1(VALU_DEP_2)
	v_add3_u32 v2, v9, v13, v12
	v_add3_u32 v3, v1, v11, v0
	v_sub_co_u32 v0, vcc_lo, v4, v8
	s_delay_alu instid0(VALU_DEP_3) | instskip(SKIP_1) | instid1(VALU_DEP_4)
	v_sub_co_ci_u32_e32 v1, vcc_lo, v5, v2, vcc_lo
	v_mul_lo_u32 v4, v10, s5
	v_mul_lo_u32 v5, v3, s4
                                        ; implicit-def: $vgpr8
	s_delay_alu instid0(VALU_DEP_3) | instskip(NEXT) | instid1(VALU_DEP_1)
	v_mad_u64_u32 v[2:3], null, v10, s4, v[0:1]
	v_add3_u32 v3, v5, v3, v4
	s_delay_alu instid0(VALU_DEP_2) | instskip(NEXT) | instid1(VALU_DEP_2)
	v_cvt_f64_u32_e32 v[4:5], v2
	v_cvt_f64_u32_e32 v[0:1], v3
	v_cmp_lt_u64_e32 vcc_lo, 0x3fffffff, v[2:3]
                                        ; implicit-def: $vgpr2_vgpr3
	s_delay_alu instid0(VALU_DEP_2) | instskip(NEXT) | instid1(VALU_DEP_1)
	v_ldexp_f64 v[0:1], v[0:1], 32
	v_add_f64 v[4:5], v[0:1], v[4:5]
                                        ; implicit-def: $vgpr0_vgpr1
	s_and_saveexec_b32 s0, vcc_lo
	s_delay_alu instid0(SALU_CYCLE_1)
	s_xor_b32 s1, exec_lo, s0
	s_cbranch_execz .LBB59_11
; %bb.10:
	s_delay_alu instid0(VALU_DEP_1)
	v_trig_preop_f64 v[0:1], v[4:5], 0
	v_trig_preop_f64 v[2:3], v[4:5], 1
	;; [unrolled: 1-line block ×3, first 2 shown]
	v_mov_b32_e32 v24, 0
	s_mov_b32 s2, 0x54442d18
	s_mov_b32 s3, 0x3ff921fb
	;; [unrolled: 1-line block ×4, first 2 shown]
	s_delay_alu instid0(VALU_DEP_4) | instskip(NEXT) | instid1(VALU_DEP_4)
	v_mul_f64 v[8:9], v[0:1], v[4:5]
	v_mul_f64 v[10:11], v[2:3], v[4:5]
	s_delay_alu instid0(VALU_DEP_4) | instskip(NEXT) | instid1(VALU_DEP_3)
	v_mul_f64 v[22:23], v[16:17], v[4:5]
	v_fma_f64 v[0:1], v[0:1], v[4:5], -v[8:9]
	s_delay_alu instid0(VALU_DEP_3) | instskip(NEXT) | instid1(VALU_DEP_3)
	v_fma_f64 v[2:3], v[2:3], v[4:5], -v[10:11]
	v_fma_f64 v[4:5], v[16:17], v[4:5], -v[22:23]
	s_delay_alu instid0(VALU_DEP_3) | instskip(NEXT) | instid1(VALU_DEP_1)
	v_add_f64 v[12:13], v[10:11], v[0:1]
	v_add_f64 v[14:15], v[12:13], -v[10:11]
	v_add_f64 v[20:21], v[8:9], v[12:13]
	s_delay_alu instid0(VALU_DEP_2) | instskip(SKIP_1) | instid1(VALU_DEP_3)
	v_add_f64 v[18:19], v[12:13], -v[14:15]
	v_add_f64 v[0:1], v[0:1], -v[14:15]
	v_ldexp_f64 v[14:15], v[20:21], -2
	v_add_f64 v[8:9], v[20:21], -v[8:9]
	s_delay_alu instid0(VALU_DEP_4) | instskip(SKIP_1) | instid1(VALU_DEP_4)
	v_add_f64 v[10:11], v[10:11], -v[18:19]
	v_add_f64 v[18:19], v[22:23], v[2:3]
	v_cmp_neq_f64_e64 vcc_lo, 0x7ff00000, |v[14:15]|
	s_delay_alu instid0(VALU_DEP_4) | instskip(NEXT) | instid1(VALU_DEP_4)
	v_add_f64 v[8:9], v[12:13], -v[8:9]
	v_add_f64 v[0:1], v[0:1], v[10:11]
	v_fract_f64_e32 v[10:11], v[14:15]
	s_delay_alu instid0(VALU_DEP_2) | instskip(NEXT) | instid1(VALU_DEP_2)
	v_add_f64 v[12:13], v[18:19], v[0:1]
	v_dual_cndmask_b32 v11, 0, v11 :: v_dual_cndmask_b32 v10, 0, v10
	s_delay_alu instid0(VALU_DEP_1) | instskip(NEXT) | instid1(VALU_DEP_3)
	v_ldexp_f64 v[10:11], v[10:11], 2
	v_add_f64 v[14:15], v[8:9], v[12:13]
	s_delay_alu instid0(VALU_DEP_1) | instskip(SKIP_1) | instid1(VALU_DEP_2)
	v_add_f64 v[20:21], v[14:15], v[10:11]
	v_add_f64 v[8:9], v[14:15], -v[8:9]
	v_cmp_gt_f64_e32 vcc_lo, 0, v[20:21]
	v_add_f64 v[20:21], v[18:19], -v[22:23]
	s_delay_alu instid0(VALU_DEP_3) | instskip(SKIP_1) | instid1(VALU_DEP_3)
	v_add_f64 v[8:9], v[12:13], -v[8:9]
	v_cndmask_b32_e64 v25, 0, 0x40100000, vcc_lo
	v_add_f64 v[29:30], v[18:19], -v[20:21]
	v_add_f64 v[2:3], v[2:3], -v[20:21]
	s_delay_alu instid0(VALU_DEP_3) | instskip(SKIP_1) | instid1(VALU_DEP_4)
	v_add_f64 v[10:11], v[10:11], v[24:25]
	v_add_f64 v[25:26], v[12:13], -v[18:19]
	v_add_f64 v[20:21], v[22:23], -v[29:30]
	s_delay_alu instid0(VALU_DEP_3) | instskip(NEXT) | instid1(VALU_DEP_3)
	v_add_f64 v[27:28], v[14:15], v[10:11]
	v_add_f64 v[31:32], v[12:13], -v[25:26]
	v_add_f64 v[0:1], v[0:1], -v[25:26]
	s_delay_alu instid0(VALU_DEP_4) | instskip(NEXT) | instid1(VALU_DEP_4)
	v_add_f64 v[2:3], v[2:3], v[20:21]
	v_cvt_i32_f64_e32 v27, v[27:28]
	s_delay_alu instid0(VALU_DEP_4) | instskip(NEXT) | instid1(VALU_DEP_2)
	v_add_f64 v[18:19], v[18:19], -v[31:32]
	v_cvt_f64_i32_e32 v[25:26], v27
	s_delay_alu instid0(VALU_DEP_2) | instskip(NEXT) | instid1(VALU_DEP_2)
	v_add_f64 v[0:1], v[0:1], v[18:19]
	v_add_f64 v[10:11], v[10:11], -v[25:26]
	s_delay_alu instid0(VALU_DEP_2) | instskip(NEXT) | instid1(VALU_DEP_2)
	v_add_f64 v[0:1], v[2:3], v[0:1]
	v_add_f64 v[2:3], v[14:15], v[10:11]
	s_delay_alu instid0(VALU_DEP_2) | instskip(NEXT) | instid1(VALU_DEP_2)
	v_add_f64 v[0:1], v[4:5], v[0:1]
	v_add_f64 v[4:5], v[2:3], -v[10:11]
	v_cmp_le_f64_e32 vcc_lo, 0.5, v[2:3]
	s_delay_alu instid0(VALU_DEP_3) | instskip(NEXT) | instid1(VALU_DEP_3)
	v_add_f64 v[0:1], v[8:9], v[0:1]
	v_add_f64 v[4:5], v[14:15], -v[4:5]
	v_cndmask_b32_e64 v25, 0, 0x3ff00000, vcc_lo
	v_add_co_ci_u32_e64 v8, s0, 0, v27, vcc_lo
	s_delay_alu instid0(VALU_DEP_2) | instskip(NEXT) | instid1(VALU_DEP_4)
	v_add_f64 v[2:3], v[2:3], -v[24:25]
	v_add_f64 v[0:1], v[0:1], v[4:5]
	s_delay_alu instid0(VALU_DEP_1) | instskip(NEXT) | instid1(VALU_DEP_1)
	v_add_f64 v[4:5], v[2:3], v[0:1]
	v_mul_f64 v[9:10], v[4:5], s[2:3]
	v_add_f64 v[2:3], v[4:5], -v[2:3]
	s_delay_alu instid0(VALU_DEP_2) | instskip(NEXT) | instid1(VALU_DEP_2)
	v_fma_f64 v[11:12], v[4:5], s[2:3], -v[9:10]
	v_add_f64 v[0:1], v[0:1], -v[2:3]
	s_delay_alu instid0(VALU_DEP_2) | instskip(NEXT) | instid1(VALU_DEP_1)
	v_fma_f64 v[2:3], v[4:5], s[4:5], v[11:12]
	v_fma_f64 v[2:3], v[0:1], s[2:3], v[2:3]
	s_delay_alu instid0(VALU_DEP_1) | instskip(NEXT) | instid1(VALU_DEP_1)
	v_add_f64 v[0:1], v[9:10], v[2:3]
	v_add_f64 v[4:5], v[0:1], -v[9:10]
	s_delay_alu instid0(VALU_DEP_1)
	v_add_f64 v[2:3], v[2:3], -v[4:5]
                                        ; implicit-def: $vgpr4_vgpr5
.LBB59_11:
	s_and_not1_saveexec_b32 s0, s1
	s_cbranch_execz .LBB59_13
; %bb.12:
	s_mov_b32 s2, 0x6dc9c883
	s_mov_b32 s3, 0x3fe45f30
	;; [unrolled: 1-line block ×3, first 2 shown]
	s_delay_alu instid0(VALU_DEP_1) | instskip(SKIP_3) | instid1(VALU_DEP_1)
	v_mul_f64 v[0:1], v[4:5], s[2:3]
	s_mov_b32 s2, 0x54442d18
	s_mov_b32 s3, 0xbff921fb
	;; [unrolled: 1-line block ×3, first 2 shown]
	v_rndne_f64_e32 v[8:9], v[0:1]
	s_delay_alu instid0(VALU_DEP_1) | instskip(SKIP_3) | instid1(VALU_DEP_2)
	v_fma_f64 v[0:1], v[8:9], s[2:3], v[4:5]
	v_mul_f64 v[2:3], v[8:9], s[4:5]
	s_mov_b32 s2, 0x252049c0
	s_mov_b32 s3, 0xb97b839a
	v_fma_f64 v[10:11], v[8:9], s[4:5], v[0:1]
	s_delay_alu instid0(VALU_DEP_2) | instskip(SKIP_1) | instid1(VALU_DEP_1)
	v_add_f64 v[4:5], v[0:1], v[2:3]
	s_mov_b32 s5, 0x3c91a626
	v_add_f64 v[0:1], v[0:1], -v[4:5]
	s_delay_alu instid0(VALU_DEP_3) | instskip(NEXT) | instid1(VALU_DEP_2)
	v_add_f64 v[4:5], v[4:5], -v[10:11]
	v_add_f64 v[0:1], v[0:1], v[2:3]
	v_fma_f64 v[2:3], v[8:9], s[4:5], v[2:3]
	s_delay_alu instid0(VALU_DEP_2) | instskip(NEXT) | instid1(VALU_DEP_1)
	v_add_f64 v[0:1], v[4:5], v[0:1]
	v_add_f64 v[0:1], v[0:1], -v[2:3]
	s_delay_alu instid0(VALU_DEP_1) | instskip(SKIP_1) | instid1(VALU_DEP_2)
	v_fma_f64 v[2:3], v[8:9], s[2:3], v[0:1]
	v_cvt_i32_f64_e32 v8, v[8:9]
	v_add_f64 v[0:1], v[10:11], v[2:3]
	s_delay_alu instid0(VALU_DEP_1) | instskip(NEXT) | instid1(VALU_DEP_1)
	v_add_f64 v[4:5], v[0:1], -v[10:11]
	v_add_f64 v[2:3], v[2:3], -v[4:5]
.LBB59_13:
	s_or_b32 exec_lo, exec_lo, s0
	v_mul_f64 v[4:5], v[0:1], v[0:1]
	s_mov_b32 s0, 0xb42fdfa7
	s_mov_b32 s2, 0xf9a43bb8
	;; [unrolled: 1-line block ×4, first 2 shown]
	s_delay_alu instid0(VALU_DEP_2) | instskip(NEXT) | instid1(VALU_DEP_2)
	v_mul_f64 v[17:18], v[2:3], 0.5
	v_fma_f64 v[9:10], v[4:5], s[2:3], s[0:1]
	s_mov_b32 s0, 0x796cde01
	s_mov_b32 s1, 0x3ec71de3
	;; [unrolled: 1-line block ×4, first 2 shown]
	v_mul_f64 v[13:14], v[4:5], 0.5
	v_mul_f64 v[19:20], v[0:1], -v[4:5]
	s_delay_alu instid0(VALU_DEP_3) | instskip(SKIP_2) | instid1(SALU_CYCLE_1)
	v_fma_f64 v[9:10], v[4:5], v[9:10], s[0:1]
	s_mov_b32 s0, 0x46cc5e42
	s_mov_b32 s1, 0xbda907db
	v_fma_f64 v[11:12], v[4:5], s[0:1], s[2:3]
	s_mov_b32 s0, 0x19e83e5c
	s_mov_b32 s1, 0xbf2a01a0
	s_delay_alu instid0(VALU_DEP_4) | instskip(NEXT) | instid1(VALU_DEP_3)
	v_add_f64 v[15:16], -v[13:14], 1.0
	v_fma_f64 v[9:10], v[4:5], v[9:10], s[0:1]
	s_mov_b32 s0, 0xa17f65f6
	s_mov_b32 s1, 0xbe927e4f
	s_delay_alu instid0(VALU_DEP_3) | instid1(SALU_CYCLE_1)
	v_fma_f64 v[11:12], v[4:5], v[11:12], s[0:1]
	s_mov_b32 s0, 0x11110bb3
	s_mov_b32 s1, 0x3f811111
	s_delay_alu instid0(VALU_DEP_3) | instskip(NEXT) | instid1(VALU_DEP_3)
	v_add_f64 v[21:22], -v[15:16], 1.0
	v_fma_f64 v[9:10], v[4:5], v[9:10], s[0:1]
	s_mov_b32 s0, 0x19f4ec90
	s_mov_b32 s1, 0x3efa01a0
	s_delay_alu instid0(VALU_DEP_3) | instid1(SALU_CYCLE_1)
	v_fma_f64 v[11:12], v[4:5], v[11:12], s[0:1]
	s_mov_b32 s0, 0x16c16967
	s_mov_b32 s1, 0xbf56c16c
	s_delay_alu instid0(VALU_DEP_3) | instskip(NEXT) | instid1(VALU_DEP_3)
	v_add_f64 v[13:14], v[21:22], -v[13:14]
	v_fma_f64 v[9:10], v[19:20], v[9:10], v[17:18]
	v_mul_f64 v[17:18], v[4:5], v[4:5]
	s_delay_alu instid0(VALU_DEP_4) | instskip(SKIP_2) | instid1(VALU_DEP_3)
	v_fma_f64 v[11:12], v[4:5], v[11:12], s[0:1]
	s_mov_b32 s1, 0x3fa55555
	s_mov_b32 s0, 0x55555555
	v_fma_f64 v[9:10], v[4:5], v[9:10], -v[2:3]
	v_fma_f64 v[2:3], v[0:1], -v[2:3], v[13:14]
	s_delay_alu instid0(VALU_DEP_3)
	v_fma_f64 v[4:5], v[4:5], v[11:12], s[0:1]
	s_mov_b32 s1, 0xbfc55555
	s_delay_alu instid0(VALU_DEP_3) | instid1(SALU_CYCLE_1)
	v_fma_f64 v[9:10], v[19:20], s[0:1], v[9:10]
	s_mov_b32 s0, 0
	s_mov_b32 s1, 0x7ff00000
	s_delay_alu instid0(VALU_DEP_2) | instskip(NEXT) | instid1(VALU_DEP_2)
	v_fma_f64 v[2:3], v[17:18], v[4:5], v[2:3]
	v_add_f64 v[0:1], v[0:1], -v[9:10]
	s_delay_alu instid0(VALU_DEP_2) | instskip(NEXT) | instid1(VALU_DEP_2)
	v_add_f64 v[2:3], v[15:16], v[2:3]
	v_xor_b32_e32 v1, 0x80000000, v1
	v_and_b32_e32 v4, 1, v8
	s_delay_alu instid0(VALU_DEP_1) | instskip(NEXT) | instid1(VALU_DEP_4)
	v_cmp_eq_u32_e32 vcc_lo, 0, v4
	v_dual_cndmask_b32 v0, v0, v2 :: v_dual_lshlrev_b32 v5, 30, v8
	s_delay_alu instid0(VALU_DEP_1) | instskip(SKIP_1) | instid1(VALU_DEP_2)
	v_dual_cndmask_b32 v1, v1, v3 :: v_dual_and_b32 v4, 0x80000000, v5
	v_mov_b32_e32 v2, 0
	v_xor_b32_e32 v1, v1, v4
	s_delay_alu instid0(VALU_DEP_1) | instskip(NEXT) | instid1(VALU_DEP_1)
	v_and_b32_e32 v3, 0x7ff00000, v1
	v_cmp_ne_u64_e32 vcc_lo, s[0:1], v[2:3]
	s_mov_b32 s0, 1
                                        ; implicit-def: $vgpr2
	s_and_saveexec_b32 s1, vcc_lo
	s_delay_alu instid0(SALU_CYCLE_1)
	s_xor_b32 s2, exec_lo, s1
	s_cbranch_execz .LBB59_25
; %bb.14:
	v_dual_mov_b32 v2, v0 :: v_dual_and_b32 v3, 0x7fffffff, v1
	s_mov_b32 s1, 0x40ec0000
	s_delay_alu instid0(VALU_DEP_1) | instid1(SALU_CYCLE_1)
	v_cmp_gt_u64_e32 vcc_lo, s[0:1], v[2:3]
                                        ; implicit-def: $vgpr2
	s_and_saveexec_b32 s0, vcc_lo
	s_delay_alu instid0(SALU_CYCLE_1)
	s_xor_b32 s3, exec_lo, s0
	s_cbranch_execz .LBB59_22
; %bb.15:
	v_mov_b32_e32 v2, 0
	s_mov_b32 s4, exec_lo
	v_cmpx_ne_u64_e32 0, v[0:1]
	s_cbranch_execz .LBB59_21
; %bb.16:
	v_bfe_u32 v12, v1, 20, 11
	v_and_b32_e32 v3, 0xfffff, v1
	s_delay_alu instid0(VALU_DEP_2) | instskip(SKIP_1) | instid1(VALU_DEP_2)
	v_sub_nc_u32_e64 v2, 0x3f0, v12 clamp
	v_cmp_eq_u32_e32 vcc_lo, 0, v12
	v_cndmask_b32_e64 v13, v2, 0x3ef, vcc_lo
	v_mov_b32_e32 v2, v0
	v_or_b32_e32 v4, 0x100000, v3
	s_delay_alu instid0(VALU_DEP_3) | instskip(NEXT) | instid1(VALU_DEP_2)
	v_add_nc_u32_e32 v5, 50, v13
	v_dual_cndmask_b32 v3, v4, v3 :: v_dual_add_nc_u32 v0, 49, v13
	s_delay_alu instid0(VALU_DEP_2) | instskip(NEXT) | instid1(VALU_DEP_2)
	v_lshlrev_b64 v[4:5], v5, -1
	v_lshlrev_b64 v[8:9], v0, 1
	s_delay_alu instid0(VALU_DEP_3) | instskip(SKIP_1) | instid1(VALU_DEP_4)
	v_lshrrev_b64 v[10:11], v13, v[2:3]
	v_add_nc_u32_e32 v0, 0xfffffc11, v12
	v_not_b32_e32 v14, v5
	v_not_b32_e32 v15, v4
	s_delay_alu instid0(VALU_DEP_4) | instskip(NEXT) | instid1(VALU_DEP_4)
	v_dual_mov_b32 v4, 0 :: v_dual_and_b32 v5, 0x40000, v11
	v_cndmask_b32_e64 v0, v0, 0xfffffc12, vcc_lo
	s_delay_alu instid0(VALU_DEP_4) | instskip(NEXT) | instid1(VALU_DEP_4)
	v_and_b32_e32 v3, v3, v14
	v_and_b32_e32 v2, v2, v15
	s_delay_alu instid0(VALU_DEP_4) | instskip(NEXT) | instid1(VALU_DEP_2)
	v_cmp_eq_u64_e64 s0, 0, v[4:5]
	v_cmp_eq_u64_e64 s1, v[2:3], v[8:9]
	v_lshrrev_b32_e32 v3, 20, v11
	s_delay_alu instid0(VALU_DEP_1) | instskip(NEXT) | instid1(VALU_DEP_3)
	v_add3_u32 v8, v0, v13, v3
	s_and_b32 s0, s0, s1
	s_delay_alu instid0(SALU_CYCLE_1) | instskip(SKIP_1) | instid1(VALU_DEP_2)
	v_cndmask_b32_e64 v2, 0, 1, s0
	s_mov_b32 s0, exec_lo
	v_add_nc_u32_e32 v9, -1, v8
	s_delay_alu instid0(VALU_DEP_2) | instskip(SKIP_1) | instid1(VALU_DEP_2)
	v_sub_co_u32 v2, vcc_lo, v10, v2
	v_subrev_co_ci_u32_e32 v5, vcc_lo, 0, v11, vcc_lo
	v_add_co_u32 v2, vcc_lo, v2, v10
	s_delay_alu instid0(VALU_DEP_2) | instskip(NEXT) | instid1(VALU_DEP_1)
	v_and_b32_e32 v0, 0x3ffff, v5
	v_add_co_ci_u32_e32 v3, vcc_lo, v0, v11, vcc_lo
                                        ; implicit-def: $vgpr0
	v_cmpx_ne_u32_e32 0, v9
	s_xor_b32 s0, exec_lo, s0
; %bb.17:
	s_delay_alu instid0(VALU_DEP_2) | instskip(SKIP_1) | instid1(VALU_DEP_2)
	v_and_b32_e32 v5, 0x200000, v3
	v_bfe_u32 v0, v3, 21, 1
	v_cmp_eq_u64_e32 vcc_lo, 0, v[4:5]
	s_delay_alu instid0(VALU_DEP_2)
	v_lshrrev_b64 v[2:3], v0, v[2:3]
	v_cndmask_b32_e32 v0, v8, v9, vcc_lo
; %bb.18:
	s_and_not1_saveexec_b32 s0, s0
; %bb.19:
	s_delay_alu instid0(VALU_DEP_2)
	v_bfe_u32 v0, v3, 20, 1
; %bb.20:
	s_or_b32 exec_lo, exec_lo, s0
	v_lshrrev_b32_e32 v1, 24, v1
	v_lshrrev_b32_e32 v2, 18, v3
	s_delay_alu instid0(VALU_DEP_3) | instskip(SKIP_4) | instid1(VALU_DEP_2)
	v_cmp_gt_i32_e32 vcc_lo, 32, v0
	v_min_i32_e32 v4, 31, v0
	v_cmp_eq_u32_e64 s0, 0, v0
	v_and_b32_e32 v3, 0x80, v1
	v_dual_cndmask_b32 v1, 3, v2 :: v_dual_mov_b32 v2, 0
	v_lshl_or_b32 v3, v4, 2, v3
	s_delay_alu instid0(VALU_DEP_2) | instskip(NEXT) | instid1(VALU_DEP_2)
	v_cmp_eq_u64_e32 vcc_lo, 0, v[1:2]
	v_and_or_b32 v0, v1, 3, v3
	s_and_b32 s0, s0, vcc_lo
	s_delay_alu instid0(VALU_DEP_1) | instid1(SALU_CYCLE_1)
	v_cndmask_b32_e64 v2, v0, 0, s0
.LBB59_21:
	s_or_b32 exec_lo, exec_lo, s4
                                        ; implicit-def: $vgpr0_vgpr1
.LBB59_22:
	s_and_not1_saveexec_b32 s0, s3
; %bb.23:
	v_lshrrev_b32_e32 v0, 24, v1
	s_delay_alu instid0(VALU_DEP_1)
	v_or_b32_e32 v2, 0x7f, v0
; %bb.24:
	s_or_b32 exec_lo, exec_lo, s0
                                        ; implicit-def: $vgpr0_vgpr1
.LBB59_25:
	s_and_not1_saveexec_b32 s0, s2
; %bb.26:
	v_lshrrev_b32_e32 v2, 24, v1
; %bb.27:
	s_or_b32 exec_lo, exec_lo, s0
	v_add_co_u32 v0, vcc_lo, s16, v6
	v_add_co_ci_u32_e32 v1, vcc_lo, s17, v7, vcc_lo
	global_store_b8 v[0:1], v2, off
.LBB59_28:
	s_nop 0
	s_sendmsg sendmsg(MSG_DEALLOC_VGPRS)
	s_endpgm
	.section	.rodata,"a",@progbits
	.p2align	6, 0x0
	.amdhsa_kernel _Z11fill_kernelI18hipblaslt_bf8_fnuzZ21hipblaslt_init_deviceIS0_Ev8ABC_dims24hipblaslt_initializationbPT_mmmmmEUlmE3_EvS5_mmT0_
		.amdhsa_group_segment_fixed_size 0
		.amdhsa_private_segment_fixed_size 0
		.amdhsa_kernarg_size 312
		.amdhsa_user_sgpr_count 15
		.amdhsa_user_sgpr_dispatch_ptr 0
		.amdhsa_user_sgpr_queue_ptr 0
		.amdhsa_user_sgpr_kernarg_segment_ptr 1
		.amdhsa_user_sgpr_dispatch_id 0
		.amdhsa_user_sgpr_private_segment_size 0
		.amdhsa_wavefront_size32 1
		.amdhsa_uses_dynamic_stack 0
		.amdhsa_enable_private_segment 0
		.amdhsa_system_sgpr_workgroup_id_x 1
		.amdhsa_system_sgpr_workgroup_id_y 0
		.amdhsa_system_sgpr_workgroup_id_z 0
		.amdhsa_system_sgpr_workgroup_info 0
		.amdhsa_system_vgpr_workitem_id 0
		.amdhsa_next_free_vgpr 33
		.amdhsa_next_free_sgpr 20
		.amdhsa_reserve_vcc 1
		.amdhsa_float_round_mode_32 0
		.amdhsa_float_round_mode_16_64 0
		.amdhsa_float_denorm_mode_32 3
		.amdhsa_float_denorm_mode_16_64 3
		.amdhsa_dx10_clamp 1
		.amdhsa_ieee_mode 1
		.amdhsa_fp16_overflow 0
		.amdhsa_workgroup_processor_mode 1
		.amdhsa_memory_ordered 1
		.amdhsa_forward_progress 0
		.amdhsa_shared_vgpr_count 0
		.amdhsa_exception_fp_ieee_invalid_op 0
		.amdhsa_exception_fp_denorm_src 0
		.amdhsa_exception_fp_ieee_div_zero 0
		.amdhsa_exception_fp_ieee_overflow 0
		.amdhsa_exception_fp_ieee_underflow 0
		.amdhsa_exception_fp_ieee_inexact 0
		.amdhsa_exception_int_div_zero 0
	.end_amdhsa_kernel
	.section	.text._Z11fill_kernelI18hipblaslt_bf8_fnuzZ21hipblaslt_init_deviceIS0_Ev8ABC_dims24hipblaslt_initializationbPT_mmmmmEUlmE3_EvS5_mmT0_,"axG",@progbits,_Z11fill_kernelI18hipblaslt_bf8_fnuzZ21hipblaslt_init_deviceIS0_Ev8ABC_dims24hipblaslt_initializationbPT_mmmmmEUlmE3_EvS5_mmT0_,comdat
.Lfunc_end59:
	.size	_Z11fill_kernelI18hipblaslt_bf8_fnuzZ21hipblaslt_init_deviceIS0_Ev8ABC_dims24hipblaslt_initializationbPT_mmmmmEUlmE3_EvS5_mmT0_, .Lfunc_end59-_Z11fill_kernelI18hipblaslt_bf8_fnuzZ21hipblaslt_init_deviceIS0_Ev8ABC_dims24hipblaslt_initializationbPT_mmmmmEUlmE3_EvS5_mmT0_
                                        ; -- End function
	.section	.AMDGPU.csdata,"",@progbits
; Kernel info:
; codeLenInByte = 4140
; NumSgprs: 22
; NumVgprs: 33
; ScratchSize: 0
; MemoryBound: 0
; FloatMode: 240
; IeeeMode: 1
; LDSByteSize: 0 bytes/workgroup (compile time only)
; SGPRBlocks: 2
; VGPRBlocks: 4
; NumSGPRsForWavesPerEU: 22
; NumVGPRsForWavesPerEU: 33
; Occupancy: 16
; WaveLimiterHint : 0
; COMPUTE_PGM_RSRC2:SCRATCH_EN: 0
; COMPUTE_PGM_RSRC2:USER_SGPR: 15
; COMPUTE_PGM_RSRC2:TRAP_HANDLER: 0
; COMPUTE_PGM_RSRC2:TGID_X_EN: 1
; COMPUTE_PGM_RSRC2:TGID_Y_EN: 0
; COMPUTE_PGM_RSRC2:TGID_Z_EN: 0
; COMPUTE_PGM_RSRC2:TIDIG_COMP_CNT: 0
	.section	.text._Z11fill_kernelI18hipblaslt_bf8_fnuzZ21hipblaslt_init_deviceIS0_Ev8ABC_dims24hipblaslt_initializationbPT_mmmmmEUlmE4_EvS5_mmT0_,"axG",@progbits,_Z11fill_kernelI18hipblaslt_bf8_fnuzZ21hipblaslt_init_deviceIS0_Ev8ABC_dims24hipblaslt_initializationbPT_mmmmmEUlmE4_EvS5_mmT0_,comdat
	.protected	_Z11fill_kernelI18hipblaslt_bf8_fnuzZ21hipblaslt_init_deviceIS0_Ev8ABC_dims24hipblaslt_initializationbPT_mmmmmEUlmE4_EvS5_mmT0_ ; -- Begin function _Z11fill_kernelI18hipblaslt_bf8_fnuzZ21hipblaslt_init_deviceIS0_Ev8ABC_dims24hipblaslt_initializationbPT_mmmmmEUlmE4_EvS5_mmT0_
	.globl	_Z11fill_kernelI18hipblaslt_bf8_fnuzZ21hipblaslt_init_deviceIS0_Ev8ABC_dims24hipblaslt_initializationbPT_mmmmmEUlmE4_EvS5_mmT0_
	.p2align	8
	.type	_Z11fill_kernelI18hipblaslt_bf8_fnuzZ21hipblaslt_init_deviceIS0_Ev8ABC_dims24hipblaslt_initializationbPT_mmmmmEUlmE4_EvS5_mmT0_,@function
_Z11fill_kernelI18hipblaslt_bf8_fnuzZ21hipblaslt_init_deviceIS0_Ev8ABC_dims24hipblaslt_initializationbPT_mmmmmEUlmE4_EvS5_mmT0_: ; @_Z11fill_kernelI18hipblaslt_bf8_fnuzZ21hipblaslt_init_deviceIS0_Ev8ABC_dims24hipblaslt_initializationbPT_mmmmmEUlmE4_EvS5_mmT0_
; %bb.0:
	s_clause 0x1
	s_load_b32 s2, s[0:1], 0x2c
	s_load_b128 s[4:7], s[0:1], 0x0
	s_waitcnt lgkmcnt(0)
	s_and_b32 s2, s2, 0xffff
	s_delay_alu instid0(SALU_CYCLE_1) | instskip(SKIP_2) | instid1(VALU_DEP_1)
	v_mad_u64_u32 v[1:2], null, s15, s2, v[0:1]
	v_mov_b32_e32 v2, 0
	s_mov_b32 s2, exec_lo
	v_cmpx_gt_u64_e64 s[6:7], v[1:2]
	s_cbranch_execz .LBB60_16
; %bb.1:
	s_load_b64 s[0:1], s[0:1], 0x10
	s_mov_b32 s2, 0x19660d
	s_waitcnt lgkmcnt(0)
	v_add_co_u32 v6, s0, v1, s0
	s_delay_alu instid0(VALU_DEP_1) | instskip(SKIP_1) | instid1(VALU_DEP_2)
	v_add_co_ci_u32_e64 v7, null, 0, s1, s0
	s_mov_b32 s0, 0xffe00000
	v_mad_u64_u32 v[0:1], null, v6, s2, 0x3c6ef35f
	s_mov_b32 s1, 0x41efffff
	s_delay_alu instid0(VALU_DEP_1) | instskip(NEXT) | instid1(VALU_DEP_1)
	v_mad_u64_u32 v[3:4], null, 0x19660d, v7, v[1:2]
	v_mov_b32_e32 v1, v3
	s_delay_alu instid0(VALU_DEP_1) | instskip(NEXT) | instid1(VALU_DEP_1)
	v_lshlrev_b64 v[3:4], 13, v[0:1]
	v_xor_b32_e32 v1, v4, v1
	s_delay_alu instid0(VALU_DEP_2) | instskip(NEXT) | instid1(VALU_DEP_1)
	v_xor_b32_e32 v0, v3, v0
	v_lshrrev_b64 v[3:4], 17, v[0:1]
	s_delay_alu instid0(VALU_DEP_1) | instskip(NEXT) | instid1(VALU_DEP_2)
	v_xor_b32_e32 v1, v4, v1
	v_xor_b32_e32 v0, v3, v0
	s_delay_alu instid0(VALU_DEP_1) | instskip(NEXT) | instid1(VALU_DEP_1)
	v_lshlrev_b64 v[3:4], 5, v[0:1]
	v_xor_b32_e32 v1, v4, v1
	s_delay_alu instid0(VALU_DEP_2) | instskip(NEXT) | instid1(VALU_DEP_1)
	v_xor_b32_e32 v0, v3, v0
	v_lshlrev_b64 v[3:4], 13, v[0:1]
	s_delay_alu instid0(VALU_DEP_1) | instskip(NEXT) | instid1(VALU_DEP_2)
	v_xor_b32_e32 v1, v4, v1
	v_xor_b32_e32 v0, v3, v0
	s_delay_alu instid0(VALU_DEP_1) | instskip(NEXT) | instid1(VALU_DEP_1)
	v_lshrrev_b64 v[3:4], 17, v[0:1]
	v_xor_b32_e32 v1, v4, v1
	s_delay_alu instid0(VALU_DEP_2) | instskip(NEXT) | instid1(VALU_DEP_1)
	v_xor_b32_e32 v0, v3, v0
	v_lshlrev_b64 v[3:4], 5, v[0:1]
	s_delay_alu instid0(VALU_DEP_1) | instskip(NEXT) | instid1(VALU_DEP_2)
	v_xor_b32_e32 v1, v4, v1
	v_xor_b32_e32 v0, v3, v0
	s_delay_alu instid0(VALU_DEP_1) | instskip(NEXT) | instid1(VALU_DEP_1)
	v_lshlrev_b64 v[3:4], 13, v[0:1]
	v_xor_b32_e32 v1, v4, v1
	s_delay_alu instid0(VALU_DEP_2) | instskip(NEXT) | instid1(VALU_DEP_1)
	v_xor_b32_e32 v0, v3, v0
	v_alignbit_b32 v1, v1, v0, 17
	s_delay_alu instid0(VALU_DEP_1) | instskip(NEXT) | instid1(VALU_DEP_1)
	v_xor_b32_e32 v0, v1, v0
	v_lshlrev_b32_e32 v1, 5, v0
	s_delay_alu instid0(VALU_DEP_1) | instskip(NEXT) | instid1(VALU_DEP_1)
	v_xor_b32_e32 v0, v1, v0
	v_cvt_f64_u32_e32 v[0:1], v0
	s_delay_alu instid0(VALU_DEP_1) | instskip(SKIP_1) | instid1(VALU_DEP_2)
	v_div_scale_f64 v[3:4], null, s[0:1], s[0:1], v[0:1]
	v_div_scale_f64 v[12:13], vcc_lo, v[0:1], s[0:1], v[0:1]
	v_rcp_f64_e32 v[8:9], v[3:4]
	s_waitcnt_depctr 0xfff
	v_fma_f64 v[10:11], -v[3:4], v[8:9], 1.0
	s_delay_alu instid0(VALU_DEP_1) | instskip(NEXT) | instid1(VALU_DEP_1)
	v_fma_f64 v[8:9], v[8:9], v[10:11], v[8:9]
	v_fma_f64 v[10:11], -v[3:4], v[8:9], 1.0
	s_delay_alu instid0(VALU_DEP_1) | instskip(NEXT) | instid1(VALU_DEP_1)
	v_fma_f64 v[8:9], v[8:9], v[10:11], v[8:9]
	v_mul_f64 v[10:11], v[12:13], v[8:9]
	s_delay_alu instid0(VALU_DEP_1) | instskip(NEXT) | instid1(VALU_DEP_1)
	v_fma_f64 v[3:4], -v[3:4], v[10:11], v[12:13]
	v_div_fmas_f64 v[3:4], v[3:4], v[8:9], v[10:11]
	s_delay_alu instid0(VALU_DEP_1) | instskip(SKIP_2) | instid1(VALU_DEP_1)
	v_div_fixup_f64 v[0:1], v[3:4], s[0:1], v[0:1]
	s_mov_b32 s0, 0
	s_mov_b32 s1, 0x7ff00000
	v_add_f64 v[0:1], v[0:1], -0.5
	s_delay_alu instid0(VALU_DEP_1) | instskip(NEXT) | instid1(VALU_DEP_1)
	v_and_b32_e32 v3, 0x7ff00000, v1
	v_cmp_ne_u64_e32 vcc_lo, s[0:1], v[2:3]
                                        ; implicit-def: $vgpr2
	s_and_saveexec_b32 s0, vcc_lo
	s_delay_alu instid0(SALU_CYCLE_1)
	s_xor_b32 s2, exec_lo, s0
	s_cbranch_execz .LBB60_13
; %bb.2:
	s_delay_alu instid0(VALU_DEP_3)
	v_dual_mov_b32 v2, v0 :: v_dual_and_b32 v3, 0x7fffffff, v1
	s_mov_b32 s0, 1
	s_mov_b32 s1, 0x40ec0000
	s_delay_alu instid0(VALU_DEP_1) | instid1(SALU_CYCLE_1)
	v_cmp_gt_u64_e32 vcc_lo, s[0:1], v[2:3]
                                        ; implicit-def: $vgpr2
	s_and_saveexec_b32 s0, vcc_lo
	s_delay_alu instid0(SALU_CYCLE_1)
	s_xor_b32 s3, exec_lo, s0
	s_cbranch_execz .LBB60_10
; %bb.3:
	v_mov_b32_e32 v2, 0
	s_mov_b32 s6, exec_lo
	v_cmpx_ne_u64_e32 0, v[0:1]
	s_cbranch_execz .LBB60_9
; %bb.4:
	v_bfe_u32 v12, v1, 20, 11
	v_and_b32_e32 v3, 0xfffff, v1
	s_delay_alu instid0(VALU_DEP_2) | instskip(SKIP_1) | instid1(VALU_DEP_2)
	v_sub_nc_u32_e64 v2, 0x3f0, v12 clamp
	v_cmp_eq_u32_e32 vcc_lo, 0, v12
	v_cndmask_b32_e64 v13, v2, 0x3ef, vcc_lo
	v_mov_b32_e32 v2, v0
	v_or_b32_e32 v4, 0x100000, v3
	s_delay_alu instid0(VALU_DEP_3) | instskip(NEXT) | instid1(VALU_DEP_2)
	v_add_nc_u32_e32 v5, 50, v13
	v_dual_cndmask_b32 v3, v4, v3 :: v_dual_add_nc_u32 v0, 49, v13
	s_delay_alu instid0(VALU_DEP_2) | instskip(NEXT) | instid1(VALU_DEP_2)
	v_lshlrev_b64 v[4:5], v5, -1
	v_lshlrev_b64 v[8:9], v0, 1
	s_delay_alu instid0(VALU_DEP_3) | instskip(SKIP_1) | instid1(VALU_DEP_4)
	v_lshrrev_b64 v[10:11], v13, v[2:3]
	v_add_nc_u32_e32 v0, 0xfffffc11, v12
	v_not_b32_e32 v14, v5
	v_not_b32_e32 v15, v4
	s_delay_alu instid0(VALU_DEP_4) | instskip(NEXT) | instid1(VALU_DEP_4)
	v_dual_mov_b32 v4, 0 :: v_dual_and_b32 v5, 0x40000, v11
	v_cndmask_b32_e64 v0, v0, 0xfffffc12, vcc_lo
	s_delay_alu instid0(VALU_DEP_4) | instskip(NEXT) | instid1(VALU_DEP_4)
	v_and_b32_e32 v3, v3, v14
	v_and_b32_e32 v2, v2, v15
	s_delay_alu instid0(VALU_DEP_4) | instskip(NEXT) | instid1(VALU_DEP_2)
	v_cmp_eq_u64_e64 s0, 0, v[4:5]
	v_cmp_eq_u64_e64 s1, v[2:3], v[8:9]
	v_lshrrev_b32_e32 v3, 20, v11
	s_delay_alu instid0(VALU_DEP_1) | instskip(NEXT) | instid1(VALU_DEP_3)
	v_add3_u32 v8, v0, v13, v3
	s_and_b32 s0, s0, s1
	s_delay_alu instid0(SALU_CYCLE_1) | instskip(SKIP_1) | instid1(VALU_DEP_2)
	v_cndmask_b32_e64 v2, 0, 1, s0
	s_mov_b32 s0, exec_lo
	v_add_nc_u32_e32 v9, -1, v8
	s_delay_alu instid0(VALU_DEP_2) | instskip(SKIP_1) | instid1(VALU_DEP_2)
	v_sub_co_u32 v2, vcc_lo, v10, v2
	v_subrev_co_ci_u32_e32 v5, vcc_lo, 0, v11, vcc_lo
	v_add_co_u32 v2, vcc_lo, v2, v10
	s_delay_alu instid0(VALU_DEP_2) | instskip(NEXT) | instid1(VALU_DEP_1)
	v_and_b32_e32 v0, 0x3ffff, v5
	v_add_co_ci_u32_e32 v3, vcc_lo, v0, v11, vcc_lo
                                        ; implicit-def: $vgpr0
	v_cmpx_ne_u32_e32 0, v9
	s_xor_b32 s0, exec_lo, s0
; %bb.5:
	s_delay_alu instid0(VALU_DEP_2) | instskip(SKIP_1) | instid1(VALU_DEP_2)
	v_and_b32_e32 v5, 0x200000, v3
	v_bfe_u32 v0, v3, 21, 1
	v_cmp_eq_u64_e32 vcc_lo, 0, v[4:5]
	s_delay_alu instid0(VALU_DEP_2)
	v_lshrrev_b64 v[2:3], v0, v[2:3]
	v_cndmask_b32_e32 v0, v8, v9, vcc_lo
; %bb.6:
	s_and_not1_saveexec_b32 s0, s0
; %bb.7:
	s_delay_alu instid0(VALU_DEP_2)
	v_bfe_u32 v0, v3, 20, 1
; %bb.8:
	s_or_b32 exec_lo, exec_lo, s0
	v_lshrrev_b32_e32 v1, 24, v1
	v_lshrrev_b32_e32 v2, 18, v3
	s_delay_alu instid0(VALU_DEP_3) | instskip(SKIP_4) | instid1(VALU_DEP_2)
	v_cmp_gt_i32_e32 vcc_lo, 32, v0
	v_min_i32_e32 v4, 31, v0
	v_cmp_eq_u32_e64 s0, 0, v0
	v_and_b32_e32 v3, 0x80, v1
	v_dual_cndmask_b32 v1, 3, v2 :: v_dual_mov_b32 v2, 0
	v_lshl_or_b32 v3, v4, 2, v3
	s_delay_alu instid0(VALU_DEP_2) | instskip(NEXT) | instid1(VALU_DEP_2)
	v_cmp_eq_u64_e32 vcc_lo, 0, v[1:2]
	v_and_or_b32 v0, v1, 3, v3
	s_and_b32 s0, s0, vcc_lo
	s_delay_alu instid0(VALU_DEP_1) | instid1(SALU_CYCLE_1)
	v_cndmask_b32_e64 v2, v0, 0, s0
.LBB60_9:
	s_or_b32 exec_lo, exec_lo, s6
                                        ; implicit-def: $vgpr0_vgpr1
.LBB60_10:
	s_and_not1_saveexec_b32 s0, s3
; %bb.11:
	v_lshrrev_b32_e32 v0, 24, v1
	s_delay_alu instid0(VALU_DEP_1)
	v_or_b32_e32 v2, 0x7f, v0
; %bb.12:
	s_or_b32 exec_lo, exec_lo, s0
                                        ; implicit-def: $vgpr0_vgpr1
.LBB60_13:
	s_and_not1_saveexec_b32 s0, s2
; %bb.14:
	v_lshrrev_b32_e32 v2, 24, v1
; %bb.15:
	s_or_b32 exec_lo, exec_lo, s0
	v_add_co_u32 v0, vcc_lo, s4, v6
	v_add_co_ci_u32_e32 v1, vcc_lo, s5, v7, vcc_lo
	global_store_b8 v[0:1], v2, off
.LBB60_16:
	s_nop 0
	s_sendmsg sendmsg(MSG_DEALLOC_VGPRS)
	s_endpgm
	.section	.rodata,"a",@progbits
	.p2align	6, 0x0
	.amdhsa_kernel _Z11fill_kernelI18hipblaslt_bf8_fnuzZ21hipblaslt_init_deviceIS0_Ev8ABC_dims24hipblaslt_initializationbPT_mmmmmEUlmE4_EvS5_mmT0_
		.amdhsa_group_segment_fixed_size 0
		.amdhsa_private_segment_fixed_size 0
		.amdhsa_kernarg_size 288
		.amdhsa_user_sgpr_count 15
		.amdhsa_user_sgpr_dispatch_ptr 0
		.amdhsa_user_sgpr_queue_ptr 0
		.amdhsa_user_sgpr_kernarg_segment_ptr 1
		.amdhsa_user_sgpr_dispatch_id 0
		.amdhsa_user_sgpr_private_segment_size 0
		.amdhsa_wavefront_size32 1
		.amdhsa_uses_dynamic_stack 0
		.amdhsa_enable_private_segment 0
		.amdhsa_system_sgpr_workgroup_id_x 1
		.amdhsa_system_sgpr_workgroup_id_y 0
		.amdhsa_system_sgpr_workgroup_id_z 0
		.amdhsa_system_sgpr_workgroup_info 0
		.amdhsa_system_vgpr_workitem_id 0
		.amdhsa_next_free_vgpr 16
		.amdhsa_next_free_sgpr 16
		.amdhsa_reserve_vcc 1
		.amdhsa_float_round_mode_32 0
		.amdhsa_float_round_mode_16_64 0
		.amdhsa_float_denorm_mode_32 3
		.amdhsa_float_denorm_mode_16_64 3
		.amdhsa_dx10_clamp 1
		.amdhsa_ieee_mode 1
		.amdhsa_fp16_overflow 0
		.amdhsa_workgroup_processor_mode 1
		.amdhsa_memory_ordered 1
		.amdhsa_forward_progress 0
		.amdhsa_shared_vgpr_count 0
		.amdhsa_exception_fp_ieee_invalid_op 0
		.amdhsa_exception_fp_denorm_src 0
		.amdhsa_exception_fp_ieee_div_zero 0
		.amdhsa_exception_fp_ieee_overflow 0
		.amdhsa_exception_fp_ieee_underflow 0
		.amdhsa_exception_fp_ieee_inexact 0
		.amdhsa_exception_int_div_zero 0
	.end_amdhsa_kernel
	.section	.text._Z11fill_kernelI18hipblaslt_bf8_fnuzZ21hipblaslt_init_deviceIS0_Ev8ABC_dims24hipblaslt_initializationbPT_mmmmmEUlmE4_EvS5_mmT0_,"axG",@progbits,_Z11fill_kernelI18hipblaslt_bf8_fnuzZ21hipblaslt_init_deviceIS0_Ev8ABC_dims24hipblaslt_initializationbPT_mmmmmEUlmE4_EvS5_mmT0_,comdat
.Lfunc_end60:
	.size	_Z11fill_kernelI18hipblaslt_bf8_fnuzZ21hipblaslt_init_deviceIS0_Ev8ABC_dims24hipblaslt_initializationbPT_mmmmmEUlmE4_EvS5_mmT0_, .Lfunc_end60-_Z11fill_kernelI18hipblaslt_bf8_fnuzZ21hipblaslt_init_deviceIS0_Ev8ABC_dims24hipblaslt_initializationbPT_mmmmmEUlmE4_EvS5_mmT0_
                                        ; -- End function
	.section	.AMDGPU.csdata,"",@progbits
; Kernel info:
; codeLenInByte = 1056
; NumSgprs: 18
; NumVgprs: 16
; ScratchSize: 0
; MemoryBound: 0
; FloatMode: 240
; IeeeMode: 1
; LDSByteSize: 0 bytes/workgroup (compile time only)
; SGPRBlocks: 2
; VGPRBlocks: 1
; NumSGPRsForWavesPerEU: 18
; NumVGPRsForWavesPerEU: 16
; Occupancy: 16
; WaveLimiterHint : 0
; COMPUTE_PGM_RSRC2:SCRATCH_EN: 0
; COMPUTE_PGM_RSRC2:USER_SGPR: 15
; COMPUTE_PGM_RSRC2:TRAP_HANDLER: 0
; COMPUTE_PGM_RSRC2:TGID_X_EN: 1
; COMPUTE_PGM_RSRC2:TGID_Y_EN: 0
; COMPUTE_PGM_RSRC2:TGID_Z_EN: 0
; COMPUTE_PGM_RSRC2:TIDIG_COMP_CNT: 0
	.section	.text._Z11fill_kernelI18hipblaslt_bf8_fnuzZ21hipblaslt_init_deviceIS0_Ev8ABC_dims24hipblaslt_initializationbPT_mmmmmEUlmE5_EvS5_mmT0_,"axG",@progbits,_Z11fill_kernelI18hipblaslt_bf8_fnuzZ21hipblaslt_init_deviceIS0_Ev8ABC_dims24hipblaslt_initializationbPT_mmmmmEUlmE5_EvS5_mmT0_,comdat
	.protected	_Z11fill_kernelI18hipblaslt_bf8_fnuzZ21hipblaslt_init_deviceIS0_Ev8ABC_dims24hipblaslt_initializationbPT_mmmmmEUlmE5_EvS5_mmT0_ ; -- Begin function _Z11fill_kernelI18hipblaslt_bf8_fnuzZ21hipblaslt_init_deviceIS0_Ev8ABC_dims24hipblaslt_initializationbPT_mmmmmEUlmE5_EvS5_mmT0_
	.globl	_Z11fill_kernelI18hipblaslt_bf8_fnuzZ21hipblaslt_init_deviceIS0_Ev8ABC_dims24hipblaslt_initializationbPT_mmmmmEUlmE5_EvS5_mmT0_
	.p2align	8
	.type	_Z11fill_kernelI18hipblaslt_bf8_fnuzZ21hipblaslt_init_deviceIS0_Ev8ABC_dims24hipblaslt_initializationbPT_mmmmmEUlmE5_EvS5_mmT0_,@function
_Z11fill_kernelI18hipblaslt_bf8_fnuzZ21hipblaslt_init_deviceIS0_Ev8ABC_dims24hipblaslt_initializationbPT_mmmmmEUlmE5_EvS5_mmT0_: ; @_Z11fill_kernelI18hipblaslt_bf8_fnuzZ21hipblaslt_init_deviceIS0_Ev8ABC_dims24hipblaslt_initializationbPT_mmmmmEUlmE5_EvS5_mmT0_
; %bb.0:
	s_clause 0x1
	s_load_b32 s2, s[0:1], 0x2c
	s_load_b128 s[4:7], s[0:1], 0x0
	s_waitcnt lgkmcnt(0)
	s_and_b32 s2, s2, 0xffff
	s_delay_alu instid0(SALU_CYCLE_1) | instskip(SKIP_2) | instid1(VALU_DEP_1)
	v_mad_u64_u32 v[1:2], null, s15, s2, v[0:1]
	v_mov_b32_e32 v2, 0
	s_mov_b32 s2, exec_lo
	v_cmpx_gt_u64_e64 s[6:7], v[1:2]
	s_cbranch_execz .LBB61_2
; %bb.1:
	s_load_b64 s[0:1], s[0:1], 0x10
	v_mov_b32_e32 v2, 0x7f
	s_waitcnt lgkmcnt(0)
	s_add_u32 s0, s0, s4
	s_addc_u32 s1, s1, s5
	v_add_co_u32 v0, s0, s0, v1
	s_delay_alu instid0(VALU_DEP_1)
	v_add_co_ci_u32_e64 v1, null, s1, 0, s0
	global_store_b8 v[0:1], v2, off
.LBB61_2:
	s_nop 0
	s_sendmsg sendmsg(MSG_DEALLOC_VGPRS)
	s_endpgm
	.section	.rodata,"a",@progbits
	.p2align	6, 0x0
	.amdhsa_kernel _Z11fill_kernelI18hipblaslt_bf8_fnuzZ21hipblaslt_init_deviceIS0_Ev8ABC_dims24hipblaslt_initializationbPT_mmmmmEUlmE5_EvS5_mmT0_
		.amdhsa_group_segment_fixed_size 0
		.amdhsa_private_segment_fixed_size 0
		.amdhsa_kernarg_size 288
		.amdhsa_user_sgpr_count 15
		.amdhsa_user_sgpr_dispatch_ptr 0
		.amdhsa_user_sgpr_queue_ptr 0
		.amdhsa_user_sgpr_kernarg_segment_ptr 1
		.amdhsa_user_sgpr_dispatch_id 0
		.amdhsa_user_sgpr_private_segment_size 0
		.amdhsa_wavefront_size32 1
		.amdhsa_uses_dynamic_stack 0
		.amdhsa_enable_private_segment 0
		.amdhsa_system_sgpr_workgroup_id_x 1
		.amdhsa_system_sgpr_workgroup_id_y 0
		.amdhsa_system_sgpr_workgroup_id_z 0
		.amdhsa_system_sgpr_workgroup_info 0
		.amdhsa_system_vgpr_workitem_id 0
		.amdhsa_next_free_vgpr 3
		.amdhsa_next_free_sgpr 16
		.amdhsa_reserve_vcc 0
		.amdhsa_float_round_mode_32 0
		.amdhsa_float_round_mode_16_64 0
		.amdhsa_float_denorm_mode_32 3
		.amdhsa_float_denorm_mode_16_64 3
		.amdhsa_dx10_clamp 1
		.amdhsa_ieee_mode 1
		.amdhsa_fp16_overflow 0
		.amdhsa_workgroup_processor_mode 1
		.amdhsa_memory_ordered 1
		.amdhsa_forward_progress 0
		.amdhsa_shared_vgpr_count 0
		.amdhsa_exception_fp_ieee_invalid_op 0
		.amdhsa_exception_fp_denorm_src 0
		.amdhsa_exception_fp_ieee_div_zero 0
		.amdhsa_exception_fp_ieee_overflow 0
		.amdhsa_exception_fp_ieee_underflow 0
		.amdhsa_exception_fp_ieee_inexact 0
		.amdhsa_exception_int_div_zero 0
	.end_amdhsa_kernel
	.section	.text._Z11fill_kernelI18hipblaslt_bf8_fnuzZ21hipblaslt_init_deviceIS0_Ev8ABC_dims24hipblaslt_initializationbPT_mmmmmEUlmE5_EvS5_mmT0_,"axG",@progbits,_Z11fill_kernelI18hipblaslt_bf8_fnuzZ21hipblaslt_init_deviceIS0_Ev8ABC_dims24hipblaslt_initializationbPT_mmmmmEUlmE5_EvS5_mmT0_,comdat
.Lfunc_end61:
	.size	_Z11fill_kernelI18hipblaslt_bf8_fnuzZ21hipblaslt_init_deviceIS0_Ev8ABC_dims24hipblaslt_initializationbPT_mmmmmEUlmE5_EvS5_mmT0_, .Lfunc_end61-_Z11fill_kernelI18hipblaslt_bf8_fnuzZ21hipblaslt_init_deviceIS0_Ev8ABC_dims24hipblaslt_initializationbPT_mmmmmEUlmE5_EvS5_mmT0_
                                        ; -- End function
	.section	.AMDGPU.csdata,"",@progbits
; Kernel info:
; codeLenInByte = 132
; NumSgprs: 16
; NumVgprs: 3
; ScratchSize: 0
; MemoryBound: 0
; FloatMode: 240
; IeeeMode: 1
; LDSByteSize: 0 bytes/workgroup (compile time only)
; SGPRBlocks: 1
; VGPRBlocks: 0
; NumSGPRsForWavesPerEU: 16
; NumVGPRsForWavesPerEU: 3
; Occupancy: 16
; WaveLimiterHint : 0
; COMPUTE_PGM_RSRC2:SCRATCH_EN: 0
; COMPUTE_PGM_RSRC2:USER_SGPR: 15
; COMPUTE_PGM_RSRC2:TRAP_HANDLER: 0
; COMPUTE_PGM_RSRC2:TGID_X_EN: 1
; COMPUTE_PGM_RSRC2:TGID_Y_EN: 0
; COMPUTE_PGM_RSRC2:TGID_Z_EN: 0
; COMPUTE_PGM_RSRC2:TIDIG_COMP_CNT: 0
	.section	.text._Z11fill_kernelI18hipblaslt_bf8_fnuzZ21hipblaslt_init_deviceIS0_Ev8ABC_dims24hipblaslt_initializationbPT_mmmmmEUlmE6_EvS5_mmT0_,"axG",@progbits,_Z11fill_kernelI18hipblaslt_bf8_fnuzZ21hipblaslt_init_deviceIS0_Ev8ABC_dims24hipblaslt_initializationbPT_mmmmmEUlmE6_EvS5_mmT0_,comdat
	.protected	_Z11fill_kernelI18hipblaslt_bf8_fnuzZ21hipblaslt_init_deviceIS0_Ev8ABC_dims24hipblaslt_initializationbPT_mmmmmEUlmE6_EvS5_mmT0_ ; -- Begin function _Z11fill_kernelI18hipblaslt_bf8_fnuzZ21hipblaslt_init_deviceIS0_Ev8ABC_dims24hipblaslt_initializationbPT_mmmmmEUlmE6_EvS5_mmT0_
	.globl	_Z11fill_kernelI18hipblaslt_bf8_fnuzZ21hipblaslt_init_deviceIS0_Ev8ABC_dims24hipblaslt_initializationbPT_mmmmmEUlmE6_EvS5_mmT0_
	.p2align	8
	.type	_Z11fill_kernelI18hipblaslt_bf8_fnuzZ21hipblaslt_init_deviceIS0_Ev8ABC_dims24hipblaslt_initializationbPT_mmmmmEUlmE6_EvS5_mmT0_,@function
_Z11fill_kernelI18hipblaslt_bf8_fnuzZ21hipblaslt_init_deviceIS0_Ev8ABC_dims24hipblaslt_initializationbPT_mmmmmEUlmE6_EvS5_mmT0_: ; @_Z11fill_kernelI18hipblaslt_bf8_fnuzZ21hipblaslt_init_deviceIS0_Ev8ABC_dims24hipblaslt_initializationbPT_mmmmmEUlmE6_EvS5_mmT0_
; %bb.0:
	s_clause 0x1
	s_load_b32 s2, s[0:1], 0x2c
	s_load_b128 s[4:7], s[0:1], 0x0
	s_waitcnt lgkmcnt(0)
	s_and_b32 s2, s2, 0xffff
	s_delay_alu instid0(SALU_CYCLE_1) | instskip(SKIP_2) | instid1(VALU_DEP_1)
	v_mad_u64_u32 v[1:2], null, s15, s2, v[0:1]
	v_mov_b32_e32 v2, 0
	s_mov_b32 s2, exec_lo
	v_cmpx_gt_u64_e64 s[6:7], v[1:2]
	s_cbranch_execz .LBB62_2
; %bb.1:
	s_load_b64 s[0:1], s[0:1], 0x10
	v_mov_b32_e32 v2, 8
	s_waitcnt lgkmcnt(0)
	s_add_u32 s0, s0, s4
	s_addc_u32 s1, s1, s5
	v_add_co_u32 v0, s0, s0, v1
	s_delay_alu instid0(VALU_DEP_1)
	v_add_co_ci_u32_e64 v1, null, s1, 0, s0
	global_store_b8 v[0:1], v2, off
.LBB62_2:
	s_nop 0
	s_sendmsg sendmsg(MSG_DEALLOC_VGPRS)
	s_endpgm
	.section	.rodata,"a",@progbits
	.p2align	6, 0x0
	.amdhsa_kernel _Z11fill_kernelI18hipblaslt_bf8_fnuzZ21hipblaslt_init_deviceIS0_Ev8ABC_dims24hipblaslt_initializationbPT_mmmmmEUlmE6_EvS5_mmT0_
		.amdhsa_group_segment_fixed_size 0
		.amdhsa_private_segment_fixed_size 0
		.amdhsa_kernarg_size 288
		.amdhsa_user_sgpr_count 15
		.amdhsa_user_sgpr_dispatch_ptr 0
		.amdhsa_user_sgpr_queue_ptr 0
		.amdhsa_user_sgpr_kernarg_segment_ptr 1
		.amdhsa_user_sgpr_dispatch_id 0
		.amdhsa_user_sgpr_private_segment_size 0
		.amdhsa_wavefront_size32 1
		.amdhsa_uses_dynamic_stack 0
		.amdhsa_enable_private_segment 0
		.amdhsa_system_sgpr_workgroup_id_x 1
		.amdhsa_system_sgpr_workgroup_id_y 0
		.amdhsa_system_sgpr_workgroup_id_z 0
		.amdhsa_system_sgpr_workgroup_info 0
		.amdhsa_system_vgpr_workitem_id 0
		.amdhsa_next_free_vgpr 3
		.amdhsa_next_free_sgpr 16
		.amdhsa_reserve_vcc 0
		.amdhsa_float_round_mode_32 0
		.amdhsa_float_round_mode_16_64 0
		.amdhsa_float_denorm_mode_32 3
		.amdhsa_float_denorm_mode_16_64 3
		.amdhsa_dx10_clamp 1
		.amdhsa_ieee_mode 1
		.amdhsa_fp16_overflow 0
		.amdhsa_workgroup_processor_mode 1
		.amdhsa_memory_ordered 1
		.amdhsa_forward_progress 0
		.amdhsa_shared_vgpr_count 0
		.amdhsa_exception_fp_ieee_invalid_op 0
		.amdhsa_exception_fp_denorm_src 0
		.amdhsa_exception_fp_ieee_div_zero 0
		.amdhsa_exception_fp_ieee_overflow 0
		.amdhsa_exception_fp_ieee_underflow 0
		.amdhsa_exception_fp_ieee_inexact 0
		.amdhsa_exception_int_div_zero 0
	.end_amdhsa_kernel
	.section	.text._Z11fill_kernelI18hipblaslt_bf8_fnuzZ21hipblaslt_init_deviceIS0_Ev8ABC_dims24hipblaslt_initializationbPT_mmmmmEUlmE6_EvS5_mmT0_,"axG",@progbits,_Z11fill_kernelI18hipblaslt_bf8_fnuzZ21hipblaslt_init_deviceIS0_Ev8ABC_dims24hipblaslt_initializationbPT_mmmmmEUlmE6_EvS5_mmT0_,comdat
.Lfunc_end62:
	.size	_Z11fill_kernelI18hipblaslt_bf8_fnuzZ21hipblaslt_init_deviceIS0_Ev8ABC_dims24hipblaslt_initializationbPT_mmmmmEUlmE6_EvS5_mmT0_, .Lfunc_end62-_Z11fill_kernelI18hipblaslt_bf8_fnuzZ21hipblaslt_init_deviceIS0_Ev8ABC_dims24hipblaslt_initializationbPT_mmmmmEUlmE6_EvS5_mmT0_
                                        ; -- End function
	.section	.AMDGPU.csdata,"",@progbits
; Kernel info:
; codeLenInByte = 128
; NumSgprs: 16
; NumVgprs: 3
; ScratchSize: 0
; MemoryBound: 0
; FloatMode: 240
; IeeeMode: 1
; LDSByteSize: 0 bytes/workgroup (compile time only)
; SGPRBlocks: 1
; VGPRBlocks: 0
; NumSGPRsForWavesPerEU: 16
; NumVGPRsForWavesPerEU: 3
; Occupancy: 16
; WaveLimiterHint : 0
; COMPUTE_PGM_RSRC2:SCRATCH_EN: 0
; COMPUTE_PGM_RSRC2:USER_SGPR: 15
; COMPUTE_PGM_RSRC2:TRAP_HANDLER: 0
; COMPUTE_PGM_RSRC2:TGID_X_EN: 1
; COMPUTE_PGM_RSRC2:TGID_Y_EN: 0
; COMPUTE_PGM_RSRC2:TGID_Z_EN: 0
; COMPUTE_PGM_RSRC2:TIDIG_COMP_CNT: 0
	.section	.text._Z11fill_kernelI18hipblaslt_bf8_fnuzZ21hipblaslt_init_deviceIS0_Ev8ABC_dims24hipblaslt_initializationbPT_mmmmmEUlmE7_EvS5_mmT0_,"axG",@progbits,_Z11fill_kernelI18hipblaslt_bf8_fnuzZ21hipblaslt_init_deviceIS0_Ev8ABC_dims24hipblaslt_initializationbPT_mmmmmEUlmE7_EvS5_mmT0_,comdat
	.protected	_Z11fill_kernelI18hipblaslt_bf8_fnuzZ21hipblaslt_init_deviceIS0_Ev8ABC_dims24hipblaslt_initializationbPT_mmmmmEUlmE7_EvS5_mmT0_ ; -- Begin function _Z11fill_kernelI18hipblaslt_bf8_fnuzZ21hipblaslt_init_deviceIS0_Ev8ABC_dims24hipblaslt_initializationbPT_mmmmmEUlmE7_EvS5_mmT0_
	.globl	_Z11fill_kernelI18hipblaslt_bf8_fnuzZ21hipblaslt_init_deviceIS0_Ev8ABC_dims24hipblaslt_initializationbPT_mmmmmEUlmE7_EvS5_mmT0_
	.p2align	8
	.type	_Z11fill_kernelI18hipblaslt_bf8_fnuzZ21hipblaslt_init_deviceIS0_Ev8ABC_dims24hipblaslt_initializationbPT_mmmmmEUlmE7_EvS5_mmT0_,@function
_Z11fill_kernelI18hipblaslt_bf8_fnuzZ21hipblaslt_init_deviceIS0_Ev8ABC_dims24hipblaslt_initializationbPT_mmmmmEUlmE7_EvS5_mmT0_: ; @_Z11fill_kernelI18hipblaslt_bf8_fnuzZ21hipblaslt_init_deviceIS0_Ev8ABC_dims24hipblaslt_initializationbPT_mmmmmEUlmE7_EvS5_mmT0_
; %bb.0:
	s_clause 0x1
	s_load_b32 s2, s[0:1], 0x2c
	s_load_b128 s[4:7], s[0:1], 0x0
	s_waitcnt lgkmcnt(0)
	s_and_b32 s2, s2, 0xffff
	s_delay_alu instid0(SALU_CYCLE_1) | instskip(SKIP_2) | instid1(VALU_DEP_1)
	v_mad_u64_u32 v[1:2], null, s15, s2, v[0:1]
	v_mov_b32_e32 v2, 0
	s_mov_b32 s2, exec_lo
	v_cmpx_gt_u64_e64 s[6:7], v[1:2]
	s_cbranch_execz .LBB63_8
; %bb.1:
	s_load_b64 s[0:1], s[0:1], 0x10
	s_mov_b32 s2, 0x19660d
	s_waitcnt lgkmcnt(0)
	v_add_co_u32 v4, s0, v1, s0
	s_delay_alu instid0(VALU_DEP_1) | instskip(NEXT) | instid1(VALU_DEP_2)
	v_add_co_ci_u32_e64 v5, null, 0, s1, s0
	v_mad_u64_u32 v[0:1], null, v4, s2, 0x3c6ef35f
	s_delay_alu instid0(VALU_DEP_1) | instskip(NEXT) | instid1(VALU_DEP_1)
	v_mad_u64_u32 v[6:7], null, 0x19660d, v5, v[1:2]
	v_mov_b32_e32 v1, v6
	s_delay_alu instid0(VALU_DEP_1) | instskip(NEXT) | instid1(VALU_DEP_1)
	v_lshlrev_b64 v[6:7], 13, v[0:1]
	v_xor_b32_e32 v1, v7, v1
	s_delay_alu instid0(VALU_DEP_2) | instskip(NEXT) | instid1(VALU_DEP_1)
	v_xor_b32_e32 v0, v6, v0
	v_lshrrev_b64 v[6:7], 17, v[0:1]
	s_delay_alu instid0(VALU_DEP_1) | instskip(NEXT) | instid1(VALU_DEP_2)
	v_xor_b32_e32 v1, v7, v1
	v_xor_b32_e32 v0, v6, v0
	s_delay_alu instid0(VALU_DEP_1) | instskip(NEXT) | instid1(VALU_DEP_1)
	v_lshlrev_b64 v[6:7], 5, v[0:1]
	v_xor_b32_e32 v1, v7, v1
	s_delay_alu instid0(VALU_DEP_2) | instskip(NEXT) | instid1(VALU_DEP_1)
	v_xor_b32_e32 v0, v6, v0
	v_lshlrev_b64 v[6:7], 13, v[0:1]
	s_delay_alu instid0(VALU_DEP_1) | instskip(NEXT) | instid1(VALU_DEP_2)
	v_xor_b32_e32 v1, v7, v1
	v_xor_b32_e32 v0, v6, v0
	s_delay_alu instid0(VALU_DEP_1) | instskip(NEXT) | instid1(VALU_DEP_1)
	v_lshrrev_b64 v[6:7], 17, v[0:1]
	v_xor_b32_e32 v1, v7, v1
	s_delay_alu instid0(VALU_DEP_2) | instskip(NEXT) | instid1(VALU_DEP_1)
	v_xor_b32_e32 v0, v6, v0
	v_lshlrev_b64 v[6:7], 5, v[0:1]
	s_delay_alu instid0(VALU_DEP_1) | instskip(NEXT) | instid1(VALU_DEP_2)
	v_xor_b32_e32 v1, v7, v1
	v_xor_b32_e32 v0, v6, v0
	s_delay_alu instid0(VALU_DEP_1) | instskip(NEXT) | instid1(VALU_DEP_1)
	v_lshlrev_b64 v[6:7], 13, v[0:1]
	v_xor_b32_e32 v1, v7, v1
	s_delay_alu instid0(VALU_DEP_2) | instskip(NEXT) | instid1(VALU_DEP_1)
	v_xor_b32_e32 v0, v6, v0
	v_alignbit_b32 v1, v1, v0, 17
	s_delay_alu instid0(VALU_DEP_1) | instskip(NEXT) | instid1(VALU_DEP_1)
	v_xor_b32_e32 v0, v1, v0
	v_lshlrev_b32_e32 v1, 5, v0
	s_delay_alu instid0(VALU_DEP_1) | instskip(NEXT) | instid1(VALU_DEP_1)
	v_xor_b32_e32 v0, v1, v0
	v_mul_hi_u32 v1, 0xcccccccd, v0
	s_delay_alu instid0(VALU_DEP_1) | instskip(NEXT) | instid1(VALU_DEP_1)
	v_lshrrev_b32_e32 v1, 3, v1
	v_mul_lo_u32 v1, v1, 10
	s_delay_alu instid0(VALU_DEP_1) | instskip(NEXT) | instid1(VALU_DEP_1)
	v_sub_nc_u32_e32 v0, v0, v1
	v_add_nc_u32_e32 v0, 1, v0
	s_delay_alu instid0(VALU_DEP_1) | instskip(NEXT) | instid1(VALU_DEP_1)
	v_cvt_f32_u32_e32 v0, v0
	v_and_b32_e32 v1, 0x7f800000, v0
	v_cmp_gt_u32_e64 s0, 0x47600001, v0
	s_delay_alu instid0(VALU_DEP_2) | instskip(SKIP_1) | instid1(VALU_DEP_3)
	v_cmp_ne_u64_e32 vcc_lo, 0x7f800000, v[1:2]
	v_mov_b32_e32 v1, 0x7f
	s_and_b32 s0, s0, vcc_lo
	s_delay_alu instid0(SALU_CYCLE_1)
	s_and_saveexec_b32 s2, s0
	s_cbranch_execz .LBB63_7
; %bb.2:
	v_lshrrev_b32_e32 v10, 23, v0
	v_cmp_gt_u32_e32 vcc_lo, 0x800000, v0
	v_and_b32_e32 v2, 0x7fffff, v0
	s_delay_alu instid0(VALU_DEP_3) | instskip(SKIP_1) | instid1(VALU_DEP_2)
	v_sub_nc_u32_e64 v1, 0x70, v10 clamp
	v_add_nc_u32_e32 v10, 0xffffff91, v10
	v_cndmask_b32_e64 v11, v1, 0x6f, vcc_lo
	v_mov_b32_e32 v1, 0
	v_or_b32_e32 v0, 0x800000, v2
	s_delay_alu instid0(VALU_DEP_3) | instskip(SKIP_1) | instid1(VALU_DEP_3)
	v_add_nc_u32_e32 v3, 21, v11
	v_add_nc_u32_e32 v6, 20, v11
	v_cndmask_b32_e32 v0, v0, v2, vcc_lo
	s_delay_alu instid0(VALU_DEP_3) | instskip(SKIP_1) | instid1(VALU_DEP_3)
	v_lshlrev_b64 v[2:3], v3, -1
	v_mov_b32_e32 v3, v1
	v_lshrrev_b64 v[8:9], v11, v[0:1]
	v_lshlrev_b64 v[6:7], v6, 1
	s_delay_alu instid0(VALU_DEP_4) | instskip(NEXT) | instid1(VALU_DEP_1)
	v_not_b32_e32 v2, v2
	v_and_b32_e32 v2, v0, v2
	s_delay_alu instid0(VALU_DEP_4) | instskip(NEXT) | instid1(VALU_DEP_2)
	v_and_b32_e32 v0, 0x200000, v8
	v_cmp_eq_u64_e64 s0, v[2:3], v[6:7]
	s_delay_alu instid0(VALU_DEP_2) | instskip(SKIP_2) | instid1(VALU_DEP_3)
	v_cmp_eq_u64_e64 s1, 0, v[0:1]
	v_cndmask_b32_e64 v0, v10, 0xffffff92, vcc_lo
	v_lshrrev_b32_e32 v2, 23, v8
	s_and_b32 vcc_lo, s1, s0
	s_delay_alu instid0(VALU_DEP_1) | instskip(SKIP_2) | instid1(VALU_DEP_2)
	v_add3_u32 v6, v0, v11, v2
	v_subrev_co_ci_u32_e32 v3, vcc_lo, 0, v8, vcc_lo
	s_mov_b32 s0, exec_lo
	v_add_nc_u32_e32 v7, -1, v6
	s_delay_alu instid0(VALU_DEP_2) | instskip(NEXT) | instid1(VALU_DEP_1)
	v_and_b32_e32 v0, 0x1fffff, v3
	v_add_co_u32 v2, vcc_lo, v0, v8
	v_add_co_ci_u32_e32 v3, vcc_lo, 0, v9, vcc_lo
                                        ; implicit-def: $vgpr0
	s_delay_alu instid0(VALU_DEP_4)
	v_cmpx_ne_u32_e32 0, v7
	s_xor_b32 s0, exec_lo, s0
; %bb.3:
	s_delay_alu instid0(VALU_DEP_3) | instskip(SKIP_1) | instid1(VALU_DEP_2)
	v_and_b32_e32 v0, 0x1000000, v2
	v_bfe_u32 v8, v2, 24, 1
	v_cmp_eq_u64_e32 vcc_lo, 0, v[0:1]
	s_delay_alu instid0(VALU_DEP_2)
	v_lshrrev_b64 v[2:3], v8, v[2:3]
	v_cndmask_b32_e32 v0, v6, v7, vcc_lo
; %bb.4:
	s_and_not1_saveexec_b32 s0, s0
; %bb.5:
	s_delay_alu instid0(VALU_DEP_2)
	v_bfe_u32 v0, v2, 23, 1
; %bb.6:
	s_or_b32 exec_lo, exec_lo, s0
	s_delay_alu instid0(VALU_DEP_3) | instskip(NEXT) | instid1(VALU_DEP_2)
	v_lshrrev_b64 v[1:2], 21, v[2:3]
	v_cmp_gt_i32_e32 vcc_lo, 32, v0
	v_min_i32_e32 v3, 31, v0
	v_cmp_eq_u32_e64 s0, 0, v0
	s_delay_alu instid0(VALU_DEP_4) | instskip(NEXT) | instid1(VALU_DEP_3)
	v_dual_cndmask_b32 v2, 0, v2 :: v_dual_cndmask_b32 v1, 3, v1
	v_lshlrev_b32_e32 v3, 2, v3
	s_delay_alu instid0(VALU_DEP_2) | instskip(NEXT) | instid1(VALU_DEP_2)
	v_cmp_eq_u64_e32 vcc_lo, 0, v[1:2]
	v_and_or_b32 v0, v1, 3, v3
	s_and_b32 s0, s0, vcc_lo
	s_delay_alu instid0(VALU_DEP_1) | instid1(SALU_CYCLE_1)
	v_cndmask_b32_e64 v1, v0, 0, s0
.LBB63_7:
	s_or_b32 exec_lo, exec_lo, s2
	v_add_co_u32 v2, vcc_lo, s4, v4
	v_add_co_ci_u32_e32 v3, vcc_lo, s5, v5, vcc_lo
	global_store_b8 v[2:3], v1, off
.LBB63_8:
	s_nop 0
	s_sendmsg sendmsg(MSG_DEALLOC_VGPRS)
	s_endpgm
	.section	.rodata,"a",@progbits
	.p2align	6, 0x0
	.amdhsa_kernel _Z11fill_kernelI18hipblaslt_bf8_fnuzZ21hipblaslt_init_deviceIS0_Ev8ABC_dims24hipblaslt_initializationbPT_mmmmmEUlmE7_EvS5_mmT0_
		.amdhsa_group_segment_fixed_size 0
		.amdhsa_private_segment_fixed_size 0
		.amdhsa_kernarg_size 288
		.amdhsa_user_sgpr_count 15
		.amdhsa_user_sgpr_dispatch_ptr 0
		.amdhsa_user_sgpr_queue_ptr 0
		.amdhsa_user_sgpr_kernarg_segment_ptr 1
		.amdhsa_user_sgpr_dispatch_id 0
		.amdhsa_user_sgpr_private_segment_size 0
		.amdhsa_wavefront_size32 1
		.amdhsa_uses_dynamic_stack 0
		.amdhsa_enable_private_segment 0
		.amdhsa_system_sgpr_workgroup_id_x 1
		.amdhsa_system_sgpr_workgroup_id_y 0
		.amdhsa_system_sgpr_workgroup_id_z 0
		.amdhsa_system_sgpr_workgroup_info 0
		.amdhsa_system_vgpr_workitem_id 0
		.amdhsa_next_free_vgpr 12
		.amdhsa_next_free_sgpr 16
		.amdhsa_reserve_vcc 1
		.amdhsa_float_round_mode_32 0
		.amdhsa_float_round_mode_16_64 0
		.amdhsa_float_denorm_mode_32 3
		.amdhsa_float_denorm_mode_16_64 3
		.amdhsa_dx10_clamp 1
		.amdhsa_ieee_mode 1
		.amdhsa_fp16_overflow 0
		.amdhsa_workgroup_processor_mode 1
		.amdhsa_memory_ordered 1
		.amdhsa_forward_progress 0
		.amdhsa_shared_vgpr_count 0
		.amdhsa_exception_fp_ieee_invalid_op 0
		.amdhsa_exception_fp_denorm_src 0
		.amdhsa_exception_fp_ieee_div_zero 0
		.amdhsa_exception_fp_ieee_overflow 0
		.amdhsa_exception_fp_ieee_underflow 0
		.amdhsa_exception_fp_ieee_inexact 0
		.amdhsa_exception_int_div_zero 0
	.end_amdhsa_kernel
	.section	.text._Z11fill_kernelI18hipblaslt_bf8_fnuzZ21hipblaslt_init_deviceIS0_Ev8ABC_dims24hipblaslt_initializationbPT_mmmmmEUlmE7_EvS5_mmT0_,"axG",@progbits,_Z11fill_kernelI18hipblaslt_bf8_fnuzZ21hipblaslt_init_deviceIS0_Ev8ABC_dims24hipblaslt_initializationbPT_mmmmmEUlmE7_EvS5_mmT0_,comdat
.Lfunc_end63:
	.size	_Z11fill_kernelI18hipblaslt_bf8_fnuzZ21hipblaslt_init_deviceIS0_Ev8ABC_dims24hipblaslt_initializationbPT_mmmmmEUlmE7_EvS5_mmT0_, .Lfunc_end63-_Z11fill_kernelI18hipblaslt_bf8_fnuzZ21hipblaslt_init_deviceIS0_Ev8ABC_dims24hipblaslt_initializationbPT_mmmmmEUlmE7_EvS5_mmT0_
                                        ; -- End function
	.section	.AMDGPU.csdata,"",@progbits
; Kernel info:
; codeLenInByte = 836
; NumSgprs: 18
; NumVgprs: 12
; ScratchSize: 0
; MemoryBound: 0
; FloatMode: 240
; IeeeMode: 1
; LDSByteSize: 0 bytes/workgroup (compile time only)
; SGPRBlocks: 2
; VGPRBlocks: 1
; NumSGPRsForWavesPerEU: 18
; NumVGPRsForWavesPerEU: 12
; Occupancy: 16
; WaveLimiterHint : 0
; COMPUTE_PGM_RSRC2:SCRATCH_EN: 0
; COMPUTE_PGM_RSRC2:USER_SGPR: 15
; COMPUTE_PGM_RSRC2:TRAP_HANDLER: 0
; COMPUTE_PGM_RSRC2:TGID_X_EN: 1
; COMPUTE_PGM_RSRC2:TGID_Y_EN: 0
; COMPUTE_PGM_RSRC2:TGID_Z_EN: 0
; COMPUTE_PGM_RSRC2:TIDIG_COMP_CNT: 0
	.section	.text._Z11fill_kernelI18hipblaslt_bf8_fnuzZ21hipblaslt_init_deviceIS0_Ev8ABC_dims24hipblaslt_initializationbPT_mmmmmEUlmE8_EvS5_mmT0_,"axG",@progbits,_Z11fill_kernelI18hipblaslt_bf8_fnuzZ21hipblaslt_init_deviceIS0_Ev8ABC_dims24hipblaslt_initializationbPT_mmmmmEUlmE8_EvS5_mmT0_,comdat
	.protected	_Z11fill_kernelI18hipblaslt_bf8_fnuzZ21hipblaslt_init_deviceIS0_Ev8ABC_dims24hipblaslt_initializationbPT_mmmmmEUlmE8_EvS5_mmT0_ ; -- Begin function _Z11fill_kernelI18hipblaslt_bf8_fnuzZ21hipblaslt_init_deviceIS0_Ev8ABC_dims24hipblaslt_initializationbPT_mmmmmEUlmE8_EvS5_mmT0_
	.globl	_Z11fill_kernelI18hipblaslt_bf8_fnuzZ21hipblaslt_init_deviceIS0_Ev8ABC_dims24hipblaslt_initializationbPT_mmmmmEUlmE8_EvS5_mmT0_
	.p2align	8
	.type	_Z11fill_kernelI18hipblaslt_bf8_fnuzZ21hipblaslt_init_deviceIS0_Ev8ABC_dims24hipblaslt_initializationbPT_mmmmmEUlmE8_EvS5_mmT0_,@function
_Z11fill_kernelI18hipblaslt_bf8_fnuzZ21hipblaslt_init_deviceIS0_Ev8ABC_dims24hipblaslt_initializationbPT_mmmmmEUlmE8_EvS5_mmT0_: ; @_Z11fill_kernelI18hipblaslt_bf8_fnuzZ21hipblaslt_init_deviceIS0_Ev8ABC_dims24hipblaslt_initializationbPT_mmmmmEUlmE8_EvS5_mmT0_
; %bb.0:
	s_clause 0x1
	s_load_b32 s2, s[0:1], 0x2c
	s_load_b128 s[4:7], s[0:1], 0x0
	s_waitcnt lgkmcnt(0)
	s_and_b32 s2, s2, 0xffff
	s_delay_alu instid0(SALU_CYCLE_1) | instskip(SKIP_2) | instid1(VALU_DEP_1)
	v_mad_u64_u32 v[1:2], null, s15, s2, v[0:1]
	v_mov_b32_e32 v2, 0
	s_mov_b32 s2, exec_lo
	v_cmpx_gt_u64_e64 s[6:7], v[1:2]
	s_cbranch_execz .LBB64_2
; %bb.1:
	s_load_b64 s[0:1], s[0:1], 0x10
	s_waitcnt lgkmcnt(0)
	s_add_u32 s0, s0, s4
	s_addc_u32 s1, s1, s5
	v_add_co_u32 v0, s0, s0, v1
	s_delay_alu instid0(VALU_DEP_1)
	v_add_co_ci_u32_e64 v1, null, s1, 0, s0
	global_store_b8 v[0:1], v2, off
.LBB64_2:
	s_nop 0
	s_sendmsg sendmsg(MSG_DEALLOC_VGPRS)
	s_endpgm
	.section	.rodata,"a",@progbits
	.p2align	6, 0x0
	.amdhsa_kernel _Z11fill_kernelI18hipblaslt_bf8_fnuzZ21hipblaslt_init_deviceIS0_Ev8ABC_dims24hipblaslt_initializationbPT_mmmmmEUlmE8_EvS5_mmT0_
		.amdhsa_group_segment_fixed_size 0
		.amdhsa_private_segment_fixed_size 0
		.amdhsa_kernarg_size 288
		.amdhsa_user_sgpr_count 15
		.amdhsa_user_sgpr_dispatch_ptr 0
		.amdhsa_user_sgpr_queue_ptr 0
		.amdhsa_user_sgpr_kernarg_segment_ptr 1
		.amdhsa_user_sgpr_dispatch_id 0
		.amdhsa_user_sgpr_private_segment_size 0
		.amdhsa_wavefront_size32 1
		.amdhsa_uses_dynamic_stack 0
		.amdhsa_enable_private_segment 0
		.amdhsa_system_sgpr_workgroup_id_x 1
		.amdhsa_system_sgpr_workgroup_id_y 0
		.amdhsa_system_sgpr_workgroup_id_z 0
		.amdhsa_system_sgpr_workgroup_info 0
		.amdhsa_system_vgpr_workitem_id 0
		.amdhsa_next_free_vgpr 3
		.amdhsa_next_free_sgpr 16
		.amdhsa_reserve_vcc 0
		.amdhsa_float_round_mode_32 0
		.amdhsa_float_round_mode_16_64 0
		.amdhsa_float_denorm_mode_32 3
		.amdhsa_float_denorm_mode_16_64 3
		.amdhsa_dx10_clamp 1
		.amdhsa_ieee_mode 1
		.amdhsa_fp16_overflow 0
		.amdhsa_workgroup_processor_mode 1
		.amdhsa_memory_ordered 1
		.amdhsa_forward_progress 0
		.amdhsa_shared_vgpr_count 0
		.amdhsa_exception_fp_ieee_invalid_op 0
		.amdhsa_exception_fp_denorm_src 0
		.amdhsa_exception_fp_ieee_div_zero 0
		.amdhsa_exception_fp_ieee_overflow 0
		.amdhsa_exception_fp_ieee_underflow 0
		.amdhsa_exception_fp_ieee_inexact 0
		.amdhsa_exception_int_div_zero 0
	.end_amdhsa_kernel
	.section	.text._Z11fill_kernelI18hipblaslt_bf8_fnuzZ21hipblaslt_init_deviceIS0_Ev8ABC_dims24hipblaslt_initializationbPT_mmmmmEUlmE8_EvS5_mmT0_,"axG",@progbits,_Z11fill_kernelI18hipblaslt_bf8_fnuzZ21hipblaslt_init_deviceIS0_Ev8ABC_dims24hipblaslt_initializationbPT_mmmmmEUlmE8_EvS5_mmT0_,comdat
.Lfunc_end64:
	.size	_Z11fill_kernelI18hipblaslt_bf8_fnuzZ21hipblaslt_init_deviceIS0_Ev8ABC_dims24hipblaslt_initializationbPT_mmmmmEUlmE8_EvS5_mmT0_, .Lfunc_end64-_Z11fill_kernelI18hipblaslt_bf8_fnuzZ21hipblaslt_init_deviceIS0_Ev8ABC_dims24hipblaslt_initializationbPT_mmmmmEUlmE8_EvS5_mmT0_
                                        ; -- End function
	.section	.AMDGPU.csdata,"",@progbits
; Kernel info:
; codeLenInByte = 124
; NumSgprs: 16
; NumVgprs: 3
; ScratchSize: 0
; MemoryBound: 0
; FloatMode: 240
; IeeeMode: 1
; LDSByteSize: 0 bytes/workgroup (compile time only)
; SGPRBlocks: 1
; VGPRBlocks: 0
; NumSGPRsForWavesPerEU: 16
; NumVGPRsForWavesPerEU: 3
; Occupancy: 16
; WaveLimiterHint : 0
; COMPUTE_PGM_RSRC2:SCRATCH_EN: 0
; COMPUTE_PGM_RSRC2:USER_SGPR: 15
; COMPUTE_PGM_RSRC2:TRAP_HANDLER: 0
; COMPUTE_PGM_RSRC2:TGID_X_EN: 1
; COMPUTE_PGM_RSRC2:TGID_Y_EN: 0
; COMPUTE_PGM_RSRC2:TGID_Z_EN: 0
; COMPUTE_PGM_RSRC2:TIDIG_COMP_CNT: 0
	.section	.text._Z11fill_kernelI18hipblaslt_bf8_fnuzZ21hipblaslt_init_deviceIS0_Ev8ABC_dims24hipblaslt_initializationbPT_mmmmmEUlmE9_EvS5_mmT0_,"axG",@progbits,_Z11fill_kernelI18hipblaslt_bf8_fnuzZ21hipblaslt_init_deviceIS0_Ev8ABC_dims24hipblaslt_initializationbPT_mmmmmEUlmE9_EvS5_mmT0_,comdat
	.protected	_Z11fill_kernelI18hipblaslt_bf8_fnuzZ21hipblaslt_init_deviceIS0_Ev8ABC_dims24hipblaslt_initializationbPT_mmmmmEUlmE9_EvS5_mmT0_ ; -- Begin function _Z11fill_kernelI18hipblaslt_bf8_fnuzZ21hipblaslt_init_deviceIS0_Ev8ABC_dims24hipblaslt_initializationbPT_mmmmmEUlmE9_EvS5_mmT0_
	.globl	_Z11fill_kernelI18hipblaslt_bf8_fnuzZ21hipblaslt_init_deviceIS0_Ev8ABC_dims24hipblaslt_initializationbPT_mmmmmEUlmE9_EvS5_mmT0_
	.p2align	8
	.type	_Z11fill_kernelI18hipblaslt_bf8_fnuzZ21hipblaslt_init_deviceIS0_Ev8ABC_dims24hipblaslt_initializationbPT_mmmmmEUlmE9_EvS5_mmT0_,@function
_Z11fill_kernelI18hipblaslt_bf8_fnuzZ21hipblaslt_init_deviceIS0_Ev8ABC_dims24hipblaslt_initializationbPT_mmmmmEUlmE9_EvS5_mmT0_: ; @_Z11fill_kernelI18hipblaslt_bf8_fnuzZ21hipblaslt_init_deviceIS0_Ev8ABC_dims24hipblaslt_initializationbPT_mmmmmEUlmE9_EvS5_mmT0_
; %bb.0:
	s_clause 0x1
	s_load_b32 s2, s[0:1], 0x2c
	s_load_b128 s[4:7], s[0:1], 0x0
	s_waitcnt lgkmcnt(0)
	s_and_b32 s2, s2, 0xffff
	s_delay_alu instid0(SALU_CYCLE_1) | instskip(SKIP_2) | instid1(VALU_DEP_1)
	v_mad_u64_u32 v[1:2], null, s15, s2, v[0:1]
	v_mov_b32_e32 v2, 0
	s_mov_b32 s2, exec_lo
	v_cmpx_gt_u64_e64 s[6:7], v[1:2]
	s_cbranch_execz .LBB65_16
; %bb.1:
	s_clause 0x1
	s_load_b64 s[2:3], s[0:1], 0x10
	s_load_b32 s0, s[0:1], 0x18
	s_waitcnt lgkmcnt(0)
	v_add_co_u32 v4, s1, v1, s2
	s_delay_alu instid0(VALU_DEP_1) | instskip(NEXT) | instid1(VALU_DEP_2)
	v_add_co_ci_u32_e64 v5, null, 0, s3, s1
	v_add_nc_u32_e32 v6, s0, v4
	s_mov_b32 s0, 0xb90ffb1d
	s_delay_alu instid0(VALU_DEP_1) | instid1(SALU_CYCLE_1)
	v_mad_u64_u32 v[0:1], null, v6, s0, 0xdc6d3ef
	v_mad_u64_u32 v[1:2], null, 0x10dcd, v6, 1
	s_mov_b32 s0, 0x6ab9d291
	s_delay_alu instid0(VALU_DEP_2) | instskip(NEXT) | instid1(VALU_DEP_2)
	v_lshrrev_b32_e32 v3, 2, v0
	v_lshlrev_b32_e32 v7, 4, v1
	s_delay_alu instid0(VALU_DEP_2) | instskip(SKIP_2) | instid1(VALU_DEP_2)
	v_xor_b32_e32 v0, v3, v0
	v_mad_u64_u32 v[2:3], null, v6, s0, 0xffffffffdfb3c992
	s_mov_b32 s0, exec_lo
	v_lshlrev_b32_e32 v3, 1, v0
	s_delay_alu instid0(VALU_DEP_2) | instskip(NEXT) | instid1(VALU_DEP_2)
	v_lshrrev_b32_e32 v8, 2, v2
	v_xor_b32_e32 v3, v7, v3
	s_delay_alu instid0(VALU_DEP_2) | instskip(NEXT) | instid1(VALU_DEP_2)
	v_xor_b32_e32 v7, v8, v2
	v_xor3_b32 v1, v3, v1, v0
                                        ; implicit-def: $vgpr3
	s_delay_alu instid0(VALU_DEP_2) | instskip(NEXT) | instid1(VALU_DEP_2)
	v_lshlrev_b32_e32 v0, 1, v7
	v_lshlrev_b32_e32 v2, 4, v1
	s_delay_alu instid0(VALU_DEP_1) | instskip(SKIP_1) | instid1(VALU_DEP_2)
	v_xor_b32_e32 v0, v0, v2
	v_xor_b32_e32 v2, 0x587c5, v6
                                        ; implicit-def: $vgpr6
	v_xor3_b32 v0, v0, v7, v1
	s_delay_alu instid0(VALU_DEP_1) | instskip(NEXT) | instid1(VALU_DEP_1)
	v_add3_u32 v0, v2, v0, 0xb0f8a
	v_cvt_f32_u32_e32 v0, v0
	s_delay_alu instid0(VALU_DEP_1) | instskip(NEXT) | instid1(VALU_DEP_1)
	v_mul_f32_e32 v0, 0x2f800000, v0
	v_mul_f32_e32 v0, 0x40c90fdb, v0
	s_delay_alu instid0(VALU_DEP_1)
	v_cmpx_ngt_f32_e32 0x48000000, v0
	s_xor_b32 s3, exec_lo, s0
	s_cbranch_execz .LBB65_3
; %bb.2:
	s_mov_b32 s0, 0x7fffff
	v_mov_b32_e32 v8, 0
	v_and_or_b32 v3, v0, s0, 0x800000
	v_lshrrev_b32_e32 v13, 23, v0
	s_delay_alu instid0(VALU_DEP_2) | instskip(NEXT) | instid1(VALU_DEP_2)
	v_mad_u64_u32 v[6:7], null, 0xfe5163ab, v3, 0
	v_add_nc_u32_e32 v14, 0xffffff88, v13
	s_delay_alu instid0(VALU_DEP_1) | instskip(NEXT) | instid1(VALU_DEP_3)
	v_cmp_lt_u32_e32 vcc_lo, 63, v14
	v_mad_u64_u32 v[9:10], null, 0x3c439041, v3, v[7:8]
	v_cndmask_b32_e64 v15, 0, 0xffffffc0, vcc_lo
	s_delay_alu instid0(VALU_DEP_2) | instskip(NEXT) | instid1(VALU_DEP_2)
	v_mov_b32_e32 v7, v10
	v_add_nc_u32_e32 v15, v15, v14
	s_delay_alu instid0(VALU_DEP_2) | instskip(NEXT) | instid1(VALU_DEP_2)
	v_mad_u64_u32 v[10:11], null, 0xdb629599, v3, v[7:8]
	v_cmp_lt_u32_e64 s0, 31, v15
	s_delay_alu instid0(VALU_DEP_1) | instskip(NEXT) | instid1(VALU_DEP_3)
	v_cndmask_b32_e64 v16, 0, 0xffffffe0, s0
	v_dual_mov_b32 v7, v11 :: v_dual_cndmask_b32 v6, v10, v6
	s_delay_alu instid0(VALU_DEP_2) | instskip(NEXT) | instid1(VALU_DEP_2)
	v_add_nc_u32_e32 v16, v16, v15
	v_mad_u64_u32 v[11:12], null, 0xf534ddc0, v3, v[7:8]
	s_delay_alu instid0(VALU_DEP_2) | instskip(NEXT) | instid1(VALU_DEP_2)
	v_cmp_lt_u32_e64 s1, 31, v16
	v_mov_b32_e32 v7, v12
	s_delay_alu instid0(VALU_DEP_3) | instskip(NEXT) | instid1(VALU_DEP_2)
	v_cndmask_b32_e32 v9, v11, v9, vcc_lo
	v_mad_u64_u32 v[12:13], null, 0xfc2757d1, v3, v[7:8]
	s_delay_alu instid0(VALU_DEP_2) | instskip(NEXT) | instid1(VALU_DEP_2)
	v_cndmask_b32_e64 v6, v9, v6, s0
	v_mov_b32_e32 v7, v13
	s_delay_alu instid0(VALU_DEP_1) | instskip(NEXT) | instid1(VALU_DEP_1)
	v_mad_u64_u32 v[13:14], null, 0x4e441529, v3, v[7:8]
	v_mov_b32_e32 v7, v14
	s_delay_alu instid0(VALU_DEP_1) | instskip(SKIP_1) | instid1(VALU_DEP_4)
	v_mad_u64_u32 v[14:15], null, 0xa2f9836e, v3, v[7:8]
	v_cndmask_b32_e64 v3, 0, 0xffffffe0, s1
	v_cndmask_b32_e32 v7, v13, v11, vcc_lo
	s_delay_alu instid0(VALU_DEP_2) | instskip(NEXT) | instid1(VALU_DEP_4)
	v_add_nc_u32_e32 v3, v3, v16
	v_dual_cndmask_b32 v8, v14, v12 :: v_dual_cndmask_b32 v13, v15, v13
	v_cndmask_b32_e32 v12, v12, v10, vcc_lo
	s_delay_alu instid0(VALU_DEP_3) | instskip(NEXT) | instid1(VALU_DEP_3)
	v_cmp_eq_u32_e64 s2, 0, v3
	v_cndmask_b32_e64 v11, v8, v7, s0
	s_delay_alu instid0(VALU_DEP_4) | instskip(NEXT) | instid1(VALU_DEP_4)
	v_cndmask_b32_e64 v8, v13, v8, s0
	v_cndmask_b32_e64 v7, v7, v12, s0
	v_sub_nc_u32_e32 v13, 32, v3
	v_cndmask_b32_e64 v12, v12, v9, s0
	s_delay_alu instid0(VALU_DEP_4) | instskip(NEXT) | instid1(VALU_DEP_4)
	v_cndmask_b32_e64 v8, v8, v11, s1
	v_cndmask_b32_e64 v11, v11, v7, s1
	s_delay_alu instid0(VALU_DEP_3) | instskip(SKIP_1) | instid1(VALU_DEP_3)
	v_cndmask_b32_e64 v7, v7, v12, s1
	v_cndmask_b32_e64 v6, v12, v6, s1
	v_alignbit_b32 v14, v8, v11, v13
	s_delay_alu instid0(VALU_DEP_3) | instskip(NEXT) | instid1(VALU_DEP_3)
	v_alignbit_b32 v15, v11, v7, v13
	v_alignbit_b32 v13, v7, v6, v13
	s_delay_alu instid0(VALU_DEP_3) | instskip(NEXT) | instid1(VALU_DEP_3)
	v_cndmask_b32_e64 v3, v14, v8, s2
	v_cndmask_b32_e64 v8, v15, v11, s2
	s_delay_alu instid0(VALU_DEP_3) | instskip(NEXT) | instid1(VALU_DEP_3)
	v_cndmask_b32_e64 v7, v13, v7, s2
	v_bfe_u32 v10, v3, 29, 1
	s_delay_alu instid0(VALU_DEP_3) | instskip(NEXT) | instid1(VALU_DEP_3)
	v_alignbit_b32 v9, v3, v8, 30
	v_alignbit_b32 v8, v8, v7, 30
	;; [unrolled: 1-line block ×3, first 2 shown]
	s_delay_alu instid0(VALU_DEP_4) | instskip(NEXT) | instid1(VALU_DEP_1)
	v_sub_nc_u32_e32 v11, 0, v10
	v_xor_b32_e32 v12, v9, v11
	v_cmp_ne_u32_e32 vcc_lo, v9, v11
	v_xor_b32_e32 v7, v8, v11
	v_xor_b32_e32 v6, v6, v11
	s_delay_alu instid0(VALU_DEP_4) | instskip(NEXT) | instid1(VALU_DEP_1)
	v_clz_i32_u32_e32 v14, v12
	v_add_nc_u32_e32 v13, 1, v14
	s_delay_alu instid0(VALU_DEP_1) | instskip(NEXT) | instid1(VALU_DEP_1)
	v_cndmask_b32_e32 v9, 33, v13, vcc_lo
	v_sub_nc_u32_e32 v8, 32, v9
	s_delay_alu instid0(VALU_DEP_1) | instskip(SKIP_2) | instid1(VALU_DEP_2)
	v_alignbit_b32 v11, v12, v7, v8
	v_alignbit_b32 v6, v7, v6, v8
	v_lshrrev_b32_e32 v7, 29, v3
	v_alignbit_b32 v8, v11, v6, 9
	s_delay_alu instid0(VALU_DEP_2) | instskip(SKIP_1) | instid1(VALU_DEP_3)
	v_lshlrev_b32_e32 v7, 31, v7
	v_alignbit_b32 v11, v9, v11, 9
	v_clz_i32_u32_e32 v12, v8
	s_delay_alu instid0(VALU_DEP_2) | instskip(SKIP_1) | instid1(VALU_DEP_3)
	v_or_b32_e32 v11, v11, v7
	v_or_b32_e32 v7, 0x33800000, v7
	v_min_u32_e32 v12, 32, v12
	s_delay_alu instid0(VALU_DEP_3) | instskip(NEXT) | instid1(VALU_DEP_2)
	v_xor_b32_e32 v11, 1.0, v11
	v_sub_nc_u32_e32 v13, 31, v12
	v_add_lshl_u32 v9, v12, v9, 23
	s_delay_alu instid0(VALU_DEP_3) | instskip(NEXT) | instid1(VALU_DEP_3)
	v_mul_f32_e32 v12, 0x3fc90fda, v11
	v_alignbit_b32 v6, v8, v6, v13
	s_delay_alu instid0(VALU_DEP_3) | instskip(NEXT) | instid1(VALU_DEP_3)
	v_sub_nc_u32_e32 v7, v7, v9
	v_fma_f32 v8, 0x3fc90fda, v11, -v12
	s_delay_alu instid0(VALU_DEP_3) | instskip(NEXT) | instid1(VALU_DEP_2)
	v_lshrrev_b32_e32 v6, 9, v6
	v_fmamk_f32 v8, v11, 0x33a22168, v8
	s_delay_alu instid0(VALU_DEP_2) | instskip(NEXT) | instid1(VALU_DEP_1)
	v_or_b32_e32 v6, v7, v6
	v_fmac_f32_e32 v8, 0x3fc90fda, v6
	v_lshrrev_b32_e32 v6, 30, v3
	s_delay_alu instid0(VALU_DEP_1)
	v_dual_add_f32 v3, v12, v8 :: v_dual_add_nc_u32 v6, v10, v6
.LBB65_3:
	s_and_not1_saveexec_b32 s0, s3
; %bb.4:
	v_mul_f32_e32 v3, 0x3f22f983, v0
	s_delay_alu instid0(VALU_DEP_1) | instskip(NEXT) | instid1(VALU_DEP_1)
	v_rndne_f32_e32 v6, v3
	v_fmamk_f32 v3, v6, 0xbfc90fda, v0
	s_delay_alu instid0(VALU_DEP_1) | instskip(NEXT) | instid1(VALU_DEP_1)
	v_fmamk_f32 v3, v6, 0xb3a22168, v3
	v_fmamk_f32 v3, v6, 0xa7c234c4, v3
	v_cvt_i32_f32_e32 v6, v6
; %bb.5:
	s_or_b32 exec_lo, exec_lo, s0
	v_add3_u32 v1, v2, v1, 0x587c5
	s_mov_b32 s0, 0xb94c1982
	s_delay_alu instid0(VALU_DEP_2) | instskip(SKIP_3) | instid1(VALU_DEP_2)
	v_and_b32_e32 v13, 1, v6
	s_mov_b32 s1, 0x37d75334
	v_lshlrev_b32_e32 v6, 30, v6
	v_cvt_f32_u32_e32 v1, v1
	v_and_b32_e32 v6, 0x80000000, v6
	s_delay_alu instid0(VALU_DEP_2) | instskip(NEXT) | instid1(VALU_DEP_1)
	v_mul_f32_e32 v1, 0x2f800000, v1
	v_cmp_ngt_f32_e32 vcc_lo, 0x2edbe6ff, v1
	v_cndmask_b32_e32 v1, 0x2edbe6ff, v1, vcc_lo
	s_delay_alu instid0(VALU_DEP_1) | instskip(SKIP_1) | instid1(VALU_DEP_1)
	v_cmp_gt_f32_e32 vcc_lo, 0x800000, v1
	v_cndmask_b32_e64 v2, 1.0, 0x4f800000, vcc_lo
	v_mul_f32_e32 v1, v1, v2
	s_delay_alu instid0(VALU_DEP_1) | instskip(SKIP_2) | instid1(VALU_DEP_1)
	v_log_f32_e32 v1, v1
	s_waitcnt_depctr 0xfff
	v_mul_f32_e32 v2, 0x3f317217, v1
	v_fma_f32 v7, 0x3f317217, v1, -v2
	s_delay_alu instid0(VALU_DEP_1) | instskip(NEXT) | instid1(VALU_DEP_1)
	v_fmamk_f32 v7, v1, 0x3377d1cf, v7
	v_add_f32_e32 v2, v2, v7
	v_cndmask_b32_e64 v7, 0, 0x41b17218, vcc_lo
	v_cmp_gt_f32_e64 vcc_lo, 0x7f800000, |v1|
	s_delay_alu instid0(VALU_DEP_3) | instskip(NEXT) | instid1(VALU_DEP_1)
	v_cndmask_b32_e32 v1, v1, v2, vcc_lo
	v_sub_f32_e32 v1, v1, v7
	v_mul_f32_e32 v7, v3, v3
	s_delay_alu instid0(VALU_DEP_1) | instskip(SKIP_1) | instid1(VALU_DEP_2)
	v_fmaak_f32 v8, s0, v7, 0x3c0881c4
	v_fmaak_f32 v9, s1, v7, 0xbab64f3b
	v_dual_fmaak_f32 v8, v7, v8, 0xbe2aaa9d :: v_dual_mul_f32 v1, -2.0, v1
	s_delay_alu instid0(VALU_DEP_2) | instskip(NEXT) | instid1(VALU_DEP_2)
	v_fmaak_f32 v9, v7, v9, 0x3d2aabf7
	v_mul_f32_e32 v8, v7, v8
	s_delay_alu instid0(VALU_DEP_3) | instskip(SKIP_1) | instid1(VALU_DEP_4)
	v_mul_f32_e32 v2, 0x4f800000, v1
	v_cmp_gt_f32_e32 vcc_lo, 0xf800000, v1
	v_fmaak_f32 v9, v7, v9, 0xbf000004
	s_delay_alu instid0(VALU_DEP_4) | instskip(NEXT) | instid1(VALU_DEP_4)
	v_fmac_f32_e32 v3, v3, v8
	v_cndmask_b32_e32 v1, v1, v2, vcc_lo
	s_delay_alu instid0(VALU_DEP_3) | instskip(NEXT) | instid1(VALU_DEP_2)
	v_fma_f32 v7, v7, v9, 1.0
	v_sqrt_f32_e32 v2, v1
	s_waitcnt_depctr 0xfff
	v_add_nc_u32_e32 v10, -1, v2
	v_add_nc_u32_e32 v11, 1, v2
	s_delay_alu instid0(VALU_DEP_2) | instskip(NEXT) | instid1(VALU_DEP_2)
	v_fma_f32 v12, -v10, v2, v1
	v_fma_f32 v14, -v11, v2, v1
	s_delay_alu instid0(VALU_DEP_2) | instskip(NEXT) | instid1(VALU_DEP_1)
	v_cmp_ge_f32_e64 s0, 0, v12
	v_cndmask_b32_e64 v2, v2, v10, s0
	s_delay_alu instid0(VALU_DEP_3) | instskip(NEXT) | instid1(VALU_DEP_1)
	v_cmp_lt_f32_e64 s0, 0, v14
	v_cndmask_b32_e64 v2, v2, v11, s0
	v_cmp_eq_u32_e64 s0, 0, v13
	s_delay_alu instid0(VALU_DEP_1) | instskip(NEXT) | instid1(VALU_DEP_3)
	v_cndmask_b32_e64 v3, -v3, v7, s0
	v_mul_f32_e32 v7, 0x37800000, v2
	s_mov_b32 s0, exec_lo
	s_delay_alu instid0(VALU_DEP_2) | instskip(NEXT) | instid1(VALU_DEP_2)
	v_xor_b32_e32 v3, v6, v3
	v_cndmask_b32_e32 v2, v2, v7, vcc_lo
	v_cmp_lg_f32_e32 vcc_lo, 0x7f800000, v0
	s_delay_alu instid0(VALU_DEP_3) | instskip(SKIP_1) | instid1(VALU_DEP_4)
	v_cndmask_b32_e32 v0, 0x7fc00000, v3, vcc_lo
	v_cmp_class_f32_e64 vcc_lo, v1, 0x260
	v_cndmask_b32_e32 v1, v2, v1, vcc_lo
	s_delay_alu instid0(VALU_DEP_1) | instskip(NEXT) | instid1(VALU_DEP_1)
	v_mul_f32_e32 v3, v1, v0
	v_dual_mov_b32 v1, 0 :: v_dual_and_b32 v0, 0x7f800000, v3
	v_lshrrev_b32_e32 v6, 24, v3
	s_delay_alu instid0(VALU_DEP_1) | instskip(NEXT) | instid1(VALU_DEP_3)
	v_or_b32_e32 v2, 0x7f, v6
	v_cmpx_ne_u64_e32 0x7f800000, v[0:1]
	s_xor_b32 s2, exec_lo, s0
	s_cbranch_execz .LBB65_15
; %bb.6:
	v_and_b32_e32 v0, 0x7fffffff, v3
	s_mov_b32 s0, exec_lo
	s_delay_alu instid0(VALU_DEP_1)
	v_cmpx_gt_u64_e32 0x47600001, v[0:1]
	s_xor_b32 s3, exec_lo, s0
	s_cbranch_execz .LBB65_14
; %bb.7:
	v_mov_b32_e32 v2, 0
	s_mov_b32 s6, exec_lo
	v_cmpx_ne_u32_e32 0, v3
	s_cbranch_execz .LBB65_13
; %bb.8:
	v_bfe_u32 v11, v3, 23, 8
	v_dual_mov_b32 v1, 0 :: v_dual_and_b32 v2, 0x7fffff, v3
	s_delay_alu instid0(VALU_DEP_2) | instskip(SKIP_2) | instid1(VALU_DEP_3)
	v_sub_nc_u32_e64 v0, 0x70, v11 clamp
	v_cmp_eq_u32_e32 vcc_lo, 0, v11
	v_add_nc_u32_e32 v11, 0xffffff91, v11
	v_cndmask_b32_e64 v12, v0, 0x6f, vcc_lo
	v_or_b32_e32 v0, 0x800000, v2
	s_delay_alu instid0(VALU_DEP_1) | instskip(SKIP_1) | instid1(VALU_DEP_2)
	v_dual_cndmask_b32 v0, v0, v2 :: v_dual_add_nc_u32 v3, 21, v12
	v_add_nc_u32_e32 v7, 20, v12
	v_lshlrev_b64 v[2:3], v3, -1
	s_delay_alu instid0(VALU_DEP_3) | instskip(NEXT) | instid1(VALU_DEP_3)
	v_lshrrev_b64 v[9:10], v12, v[0:1]
	v_lshlrev_b64 v[7:8], v7, 1
	s_delay_alu instid0(VALU_DEP_3) | instskip(NEXT) | instid1(VALU_DEP_1)
	v_not_b32_e32 v2, v2
	v_dual_mov_b32 v3, v1 :: v_dual_and_b32 v2, v0, v2
	s_delay_alu instid0(VALU_DEP_4) | instskip(NEXT) | instid1(VALU_DEP_2)
	v_and_b32_e32 v0, 0x200000, v9
	v_cmp_eq_u64_e64 s0, v[2:3], v[7:8]
	s_delay_alu instid0(VALU_DEP_2) | instskip(SKIP_2) | instid1(VALU_DEP_3)
	v_cmp_eq_u64_e64 s1, 0, v[0:1]
	v_cndmask_b32_e64 v0, v11, 0xffffff92, vcc_lo
	v_lshrrev_b32_e32 v2, 23, v9
	s_and_b32 vcc_lo, s1, s0
	s_delay_alu instid0(VALU_DEP_1) | instskip(SKIP_2) | instid1(VALU_DEP_2)
	v_add3_u32 v7, v0, v12, v2
	v_subrev_co_ci_u32_e32 v3, vcc_lo, 0, v9, vcc_lo
	s_mov_b32 s0, exec_lo
	v_add_nc_u32_e32 v8, -1, v7
	s_delay_alu instid0(VALU_DEP_2) | instskip(NEXT) | instid1(VALU_DEP_1)
	v_and_b32_e32 v0, 0x1fffff, v3
	v_add_co_u32 v2, vcc_lo, v0, v9
	v_add_co_ci_u32_e32 v3, vcc_lo, 0, v10, vcc_lo
                                        ; implicit-def: $vgpr0
	s_delay_alu instid0(VALU_DEP_4)
	v_cmpx_ne_u32_e32 0, v8
	s_xor_b32 s0, exec_lo, s0
; %bb.9:
	s_delay_alu instid0(VALU_DEP_3) | instskip(SKIP_1) | instid1(VALU_DEP_2)
	v_and_b32_e32 v0, 0x1000000, v2
	v_bfe_u32 v9, v2, 24, 1
	v_cmp_eq_u64_e32 vcc_lo, 0, v[0:1]
	s_delay_alu instid0(VALU_DEP_2)
	v_lshrrev_b64 v[2:3], v9, v[2:3]
	v_cndmask_b32_e32 v0, v7, v8, vcc_lo
; %bb.10:
	s_and_not1_saveexec_b32 s0, s0
; %bb.11:
	s_delay_alu instid0(VALU_DEP_2)
	v_bfe_u32 v0, v2, 23, 1
; %bb.12:
	s_or_b32 exec_lo, exec_lo, s0
	s_delay_alu instid0(VALU_DEP_3) | instskip(NEXT) | instid1(VALU_DEP_2)
	v_lshrrev_b64 v[1:2], 21, v[2:3]
	v_cmp_gt_i32_e32 vcc_lo, 32, v0
	v_and_b32_e32 v3, 0x80, v6
	v_min_i32_e32 v6, 31, v0
	v_cmp_eq_u32_e64 s0, 0, v0
	v_dual_cndmask_b32 v2, 0, v2 :: v_dual_cndmask_b32 v1, 3, v1
	s_delay_alu instid0(VALU_DEP_3) | instskip(NEXT) | instid1(VALU_DEP_2)
	v_lshl_or_b32 v3, v6, 2, v3
	v_cmp_eq_u64_e32 vcc_lo, 0, v[1:2]
	s_delay_alu instid0(VALU_DEP_2)
	v_and_or_b32 v0, v1, 3, v3
	s_and_b32 s0, s0, vcc_lo
	s_delay_alu instid0(VALU_DEP_1) | instid1(SALU_CYCLE_1)
	v_cndmask_b32_e64 v2, v0, 0, s0
.LBB65_13:
	s_or_b32 exec_lo, exec_lo, s6
.LBB65_14:
	s_and_not1_saveexec_b32 s0, s3
	s_delay_alu instid0(SALU_CYCLE_1)
	s_or_b32 exec_lo, exec_lo, s0
.LBB65_15:
	s_and_not1_saveexec_b32 s0, s2
	s_delay_alu instid0(SALU_CYCLE_1)
	s_or_b32 exec_lo, exec_lo, s0
	v_add_co_u32 v0, vcc_lo, s4, v4
	v_add_co_ci_u32_e32 v1, vcc_lo, s5, v5, vcc_lo
	global_store_b8 v[0:1], v2, off
.LBB65_16:
	s_nop 0
	s_sendmsg sendmsg(MSG_DEALLOC_VGPRS)
	s_endpgm
	.section	.rodata,"a",@progbits
	.p2align	6, 0x0
	.amdhsa_kernel _Z11fill_kernelI18hipblaslt_bf8_fnuzZ21hipblaslt_init_deviceIS0_Ev8ABC_dims24hipblaslt_initializationbPT_mmmmmEUlmE9_EvS5_mmT0_
		.amdhsa_group_segment_fixed_size 0
		.amdhsa_private_segment_fixed_size 0
		.amdhsa_kernarg_size 288
		.amdhsa_user_sgpr_count 15
		.amdhsa_user_sgpr_dispatch_ptr 0
		.amdhsa_user_sgpr_queue_ptr 0
		.amdhsa_user_sgpr_kernarg_segment_ptr 1
		.amdhsa_user_sgpr_dispatch_id 0
		.amdhsa_user_sgpr_private_segment_size 0
		.amdhsa_wavefront_size32 1
		.amdhsa_uses_dynamic_stack 0
		.amdhsa_enable_private_segment 0
		.amdhsa_system_sgpr_workgroup_id_x 1
		.amdhsa_system_sgpr_workgroup_id_y 0
		.amdhsa_system_sgpr_workgroup_id_z 0
		.amdhsa_system_sgpr_workgroup_info 0
		.amdhsa_system_vgpr_workitem_id 0
		.amdhsa_next_free_vgpr 17
		.amdhsa_next_free_sgpr 16
		.amdhsa_reserve_vcc 1
		.amdhsa_float_round_mode_32 0
		.amdhsa_float_round_mode_16_64 0
		.amdhsa_float_denorm_mode_32 3
		.amdhsa_float_denorm_mode_16_64 3
		.amdhsa_dx10_clamp 1
		.amdhsa_ieee_mode 1
		.amdhsa_fp16_overflow 0
		.amdhsa_workgroup_processor_mode 1
		.amdhsa_memory_ordered 1
		.amdhsa_forward_progress 0
		.amdhsa_shared_vgpr_count 0
		.amdhsa_exception_fp_ieee_invalid_op 0
		.amdhsa_exception_fp_denorm_src 0
		.amdhsa_exception_fp_ieee_div_zero 0
		.amdhsa_exception_fp_ieee_overflow 0
		.amdhsa_exception_fp_ieee_underflow 0
		.amdhsa_exception_fp_ieee_inexact 0
		.amdhsa_exception_int_div_zero 0
	.end_amdhsa_kernel
	.section	.text._Z11fill_kernelI18hipblaslt_bf8_fnuzZ21hipblaslt_init_deviceIS0_Ev8ABC_dims24hipblaslt_initializationbPT_mmmmmEUlmE9_EvS5_mmT0_,"axG",@progbits,_Z11fill_kernelI18hipblaslt_bf8_fnuzZ21hipblaslt_init_deviceIS0_Ev8ABC_dims24hipblaslt_initializationbPT_mmmmmEUlmE9_EvS5_mmT0_,comdat
.Lfunc_end65:
	.size	_Z11fill_kernelI18hipblaslt_bf8_fnuzZ21hipblaslt_init_deviceIS0_Ev8ABC_dims24hipblaslt_initializationbPT_mmmmmEUlmE9_EvS5_mmT0_, .Lfunc_end65-_Z11fill_kernelI18hipblaslt_bf8_fnuzZ21hipblaslt_init_deviceIS0_Ev8ABC_dims24hipblaslt_initializationbPT_mmmmmEUlmE9_EvS5_mmT0_
                                        ; -- End function
	.section	.AMDGPU.csdata,"",@progbits
; Kernel info:
; codeLenInByte = 2080
; NumSgprs: 18
; NumVgprs: 17
; ScratchSize: 0
; MemoryBound: 0
; FloatMode: 240
; IeeeMode: 1
; LDSByteSize: 0 bytes/workgroup (compile time only)
; SGPRBlocks: 2
; VGPRBlocks: 2
; NumSGPRsForWavesPerEU: 18
; NumVGPRsForWavesPerEU: 17
; Occupancy: 16
; WaveLimiterHint : 0
; COMPUTE_PGM_RSRC2:SCRATCH_EN: 0
; COMPUTE_PGM_RSRC2:USER_SGPR: 15
; COMPUTE_PGM_RSRC2:TRAP_HANDLER: 0
; COMPUTE_PGM_RSRC2:TGID_X_EN: 1
; COMPUTE_PGM_RSRC2:TGID_Y_EN: 0
; COMPUTE_PGM_RSRC2:TGID_Z_EN: 0
; COMPUTE_PGM_RSRC2:TIDIG_COMP_CNT: 0
	.section	.text._Z11fill_kernelI12hipblaslt_f8Z21hipblaslt_init_deviceIS0_Ev8ABC_dims24hipblaslt_initializationbPT_mmmmmEUlmE_EvS5_mmT0_,"axG",@progbits,_Z11fill_kernelI12hipblaslt_f8Z21hipblaslt_init_deviceIS0_Ev8ABC_dims24hipblaslt_initializationbPT_mmmmmEUlmE_EvS5_mmT0_,comdat
	.protected	_Z11fill_kernelI12hipblaslt_f8Z21hipblaslt_init_deviceIS0_Ev8ABC_dims24hipblaslt_initializationbPT_mmmmmEUlmE_EvS5_mmT0_ ; -- Begin function _Z11fill_kernelI12hipblaslt_f8Z21hipblaslt_init_deviceIS0_Ev8ABC_dims24hipblaslt_initializationbPT_mmmmmEUlmE_EvS5_mmT0_
	.globl	_Z11fill_kernelI12hipblaslt_f8Z21hipblaslt_init_deviceIS0_Ev8ABC_dims24hipblaslt_initializationbPT_mmmmmEUlmE_EvS5_mmT0_
	.p2align	8
	.type	_Z11fill_kernelI12hipblaslt_f8Z21hipblaslt_init_deviceIS0_Ev8ABC_dims24hipblaslt_initializationbPT_mmmmmEUlmE_EvS5_mmT0_,@function
_Z11fill_kernelI12hipblaslt_f8Z21hipblaslt_init_deviceIS0_Ev8ABC_dims24hipblaslt_initializationbPT_mmmmmEUlmE_EvS5_mmT0_: ; @_Z11fill_kernelI12hipblaslt_f8Z21hipblaslt_init_deviceIS0_Ev8ABC_dims24hipblaslt_initializationbPT_mmmmmEUlmE_EvS5_mmT0_
; %bb.0:
	s_clause 0x1
	s_load_b32 s2, s[0:1], 0x8c
	s_load_b128 s[4:7], s[0:1], 0x0
	s_waitcnt lgkmcnt(0)
	s_and_b32 s2, s2, 0xffff
	s_delay_alu instid0(SALU_CYCLE_1) | instskip(SKIP_2) | instid1(VALU_DEP_1)
	v_mad_u64_u32 v[1:2], null, s15, s2, v[0:1]
	v_mov_b32_e32 v2, 0
	s_mov_b32 s2, exec_lo
	v_cmpx_gt_u64_e64 s[6:7], v[1:2]
	s_cbranch_execz .LBB66_2
; %bb.1:
	s_load_b64 s[2:3], s[0:1], 0x10
	s_mov_b32 s6, 0x19660d
	s_waitcnt lgkmcnt(0)
	v_add_co_u32 v4, s2, v1, s2
	s_delay_alu instid0(VALU_DEP_1) | instskip(NEXT) | instid1(VALU_DEP_2)
	v_add_co_ci_u32_e64 v5, null, 0, s3, s2
	v_mad_u64_u32 v[0:1], null, v4, s6, 0x3c6ef35f
	s_delay_alu instid0(VALU_DEP_1) | instskip(NEXT) | instid1(VALU_DEP_1)
	v_mad_u64_u32 v[2:3], null, 0x19660d, v5, v[1:2]
	v_mov_b32_e32 v1, v2
	s_delay_alu instid0(VALU_DEP_1) | instskip(NEXT) | instid1(VALU_DEP_1)
	v_lshlrev_b64 v[2:3], 13, v[0:1]
	v_xor_b32_e32 v1, v3, v1
	s_delay_alu instid0(VALU_DEP_2) | instskip(NEXT) | instid1(VALU_DEP_1)
	v_xor_b32_e32 v0, v2, v0
	v_lshrrev_b64 v[2:3], 17, v[0:1]
	s_delay_alu instid0(VALU_DEP_1) | instskip(NEXT) | instid1(VALU_DEP_2)
	v_xor_b32_e32 v1, v3, v1
	v_xor_b32_e32 v0, v2, v0
	s_delay_alu instid0(VALU_DEP_1) | instskip(NEXT) | instid1(VALU_DEP_1)
	v_lshlrev_b64 v[2:3], 5, v[0:1]
	v_xor_b32_e32 v1, v3, v1
	s_delay_alu instid0(VALU_DEP_2) | instskip(NEXT) | instid1(VALU_DEP_1)
	v_xor_b32_e32 v0, v2, v0
	v_lshlrev_b64 v[2:3], 13, v[0:1]
	s_delay_alu instid0(VALU_DEP_1) | instskip(NEXT) | instid1(VALU_DEP_2)
	v_xor_b32_e32 v1, v3, v1
	v_xor_b32_e32 v0, v2, v0
	s_delay_alu instid0(VALU_DEP_1) | instskip(NEXT) | instid1(VALU_DEP_1)
	v_lshrrev_b64 v[2:3], 17, v[0:1]
	v_xor_b32_e32 v1, v3, v1
	s_delay_alu instid0(VALU_DEP_2) | instskip(NEXT) | instid1(VALU_DEP_1)
	v_xor_b32_e32 v0, v2, v0
	v_lshlrev_b64 v[2:3], 5, v[0:1]
	s_delay_alu instid0(VALU_DEP_1) | instskip(NEXT) | instid1(VALU_DEP_2)
	v_xor_b32_e32 v1, v3, v1
	v_xor_b32_e32 v0, v2, v0
	s_delay_alu instid0(VALU_DEP_1) | instskip(NEXT) | instid1(VALU_DEP_1)
	v_lshlrev_b64 v[2:3], 13, v[0:1]
	v_xor_b32_e32 v1, v3, v1
	s_delay_alu instid0(VALU_DEP_2) | instskip(NEXT) | instid1(VALU_DEP_1)
	v_xor_b32_e32 v0, v2, v0
	v_alignbit_b32 v1, v1, v0, 17
	s_delay_alu instid0(VALU_DEP_1) | instskip(NEXT) | instid1(VALU_DEP_1)
	v_xor_b32_e32 v0, v1, v0
	v_lshlrev_b32_e32 v1, 5, v0
	s_delay_alu instid0(VALU_DEP_1) | instskip(NEXT) | instid1(VALU_DEP_1)
	v_xor_b32_e32 v0, v1, v0
	v_mul_hi_u32 v1, 0x51eb851f, v0
	s_delay_alu instid0(VALU_DEP_1) | instskip(NEXT) | instid1(VALU_DEP_1)
	v_lshrrev_b32_e32 v1, 5, v1
	v_mul_lo_u32 v1, 0x64, v1
	s_delay_alu instid0(VALU_DEP_1)
	v_sub_nc_u32_e32 v0, v0, v1
	global_load_u8 v2, v0, s[0:1] offset:24
	v_add_co_u32 v0, vcc_lo, s4, v4
	v_add_co_ci_u32_e32 v1, vcc_lo, s5, v5, vcc_lo
	s_waitcnt vmcnt(0)
	global_store_b8 v[0:1], v2, off
.LBB66_2:
	s_nop 0
	s_sendmsg sendmsg(MSG_DEALLOC_VGPRS)
	s_endpgm
	.section	.rodata,"a",@progbits
	.p2align	6, 0x0
	.amdhsa_kernel _Z11fill_kernelI12hipblaslt_f8Z21hipblaslt_init_deviceIS0_Ev8ABC_dims24hipblaslt_initializationbPT_mmmmmEUlmE_EvS5_mmT0_
		.amdhsa_group_segment_fixed_size 0
		.amdhsa_private_segment_fixed_size 0
		.amdhsa_kernarg_size 384
		.amdhsa_user_sgpr_count 15
		.amdhsa_user_sgpr_dispatch_ptr 0
		.amdhsa_user_sgpr_queue_ptr 0
		.amdhsa_user_sgpr_kernarg_segment_ptr 1
		.amdhsa_user_sgpr_dispatch_id 0
		.amdhsa_user_sgpr_private_segment_size 0
		.amdhsa_wavefront_size32 1
		.amdhsa_uses_dynamic_stack 0
		.amdhsa_enable_private_segment 0
		.amdhsa_system_sgpr_workgroup_id_x 1
		.amdhsa_system_sgpr_workgroup_id_y 0
		.amdhsa_system_sgpr_workgroup_id_z 0
		.amdhsa_system_sgpr_workgroup_info 0
		.amdhsa_system_vgpr_workitem_id 0
		.amdhsa_next_free_vgpr 6
		.amdhsa_next_free_sgpr 16
		.amdhsa_reserve_vcc 1
		.amdhsa_float_round_mode_32 0
		.amdhsa_float_round_mode_16_64 0
		.amdhsa_float_denorm_mode_32 3
		.amdhsa_float_denorm_mode_16_64 3
		.amdhsa_dx10_clamp 1
		.amdhsa_ieee_mode 1
		.amdhsa_fp16_overflow 0
		.amdhsa_workgroup_processor_mode 1
		.amdhsa_memory_ordered 1
		.amdhsa_forward_progress 0
		.amdhsa_shared_vgpr_count 0
		.amdhsa_exception_fp_ieee_invalid_op 0
		.amdhsa_exception_fp_denorm_src 0
		.amdhsa_exception_fp_ieee_div_zero 0
		.amdhsa_exception_fp_ieee_overflow 0
		.amdhsa_exception_fp_ieee_underflow 0
		.amdhsa_exception_fp_ieee_inexact 0
		.amdhsa_exception_int_div_zero 0
	.end_amdhsa_kernel
	.section	.text._Z11fill_kernelI12hipblaslt_f8Z21hipblaslt_init_deviceIS0_Ev8ABC_dims24hipblaslt_initializationbPT_mmmmmEUlmE_EvS5_mmT0_,"axG",@progbits,_Z11fill_kernelI12hipblaslt_f8Z21hipblaslt_init_deviceIS0_Ev8ABC_dims24hipblaslt_initializationbPT_mmmmmEUlmE_EvS5_mmT0_,comdat
.Lfunc_end66:
	.size	_Z11fill_kernelI12hipblaslt_f8Z21hipblaslt_init_deviceIS0_Ev8ABC_dims24hipblaslt_initializationbPT_mmmmmEUlmE_EvS5_mmT0_, .Lfunc_end66-_Z11fill_kernelI12hipblaslt_f8Z21hipblaslt_init_deviceIS0_Ev8ABC_dims24hipblaslt_initializationbPT_mmmmmEUlmE_EvS5_mmT0_
                                        ; -- End function
	.section	.AMDGPU.csdata,"",@progbits
; Kernel info:
; codeLenInByte = 404
; NumSgprs: 18
; NumVgprs: 6
; ScratchSize: 0
; MemoryBound: 0
; FloatMode: 240
; IeeeMode: 1
; LDSByteSize: 0 bytes/workgroup (compile time only)
; SGPRBlocks: 2
; VGPRBlocks: 0
; NumSGPRsForWavesPerEU: 18
; NumVGPRsForWavesPerEU: 6
; Occupancy: 16
; WaveLimiterHint : 0
; COMPUTE_PGM_RSRC2:SCRATCH_EN: 0
; COMPUTE_PGM_RSRC2:USER_SGPR: 15
; COMPUTE_PGM_RSRC2:TRAP_HANDLER: 0
; COMPUTE_PGM_RSRC2:TGID_X_EN: 1
; COMPUTE_PGM_RSRC2:TGID_Y_EN: 0
; COMPUTE_PGM_RSRC2:TGID_Z_EN: 0
; COMPUTE_PGM_RSRC2:TIDIG_COMP_CNT: 0
	.section	.text._Z11fill_kernelI12hipblaslt_f8Z21hipblaslt_init_deviceIS0_Ev8ABC_dims24hipblaslt_initializationbPT_mmmmmEUlmE0_EvS5_mmT0_,"axG",@progbits,_Z11fill_kernelI12hipblaslt_f8Z21hipblaslt_init_deviceIS0_Ev8ABC_dims24hipblaslt_initializationbPT_mmmmmEUlmE0_EvS5_mmT0_,comdat
	.protected	_Z11fill_kernelI12hipblaslt_f8Z21hipblaslt_init_deviceIS0_Ev8ABC_dims24hipblaslt_initializationbPT_mmmmmEUlmE0_EvS5_mmT0_ ; -- Begin function _Z11fill_kernelI12hipblaslt_f8Z21hipblaslt_init_deviceIS0_Ev8ABC_dims24hipblaslt_initializationbPT_mmmmmEUlmE0_EvS5_mmT0_
	.globl	_Z11fill_kernelI12hipblaslt_f8Z21hipblaslt_init_deviceIS0_Ev8ABC_dims24hipblaslt_initializationbPT_mmmmmEUlmE0_EvS5_mmT0_
	.p2align	8
	.type	_Z11fill_kernelI12hipblaslt_f8Z21hipblaslt_init_deviceIS0_Ev8ABC_dims24hipblaslt_initializationbPT_mmmmmEUlmE0_EvS5_mmT0_,@function
_Z11fill_kernelI12hipblaslt_f8Z21hipblaslt_init_deviceIS0_Ev8ABC_dims24hipblaslt_initializationbPT_mmmmmEUlmE0_EvS5_mmT0_: ; @_Z11fill_kernelI12hipblaslt_f8Z21hipblaslt_init_deviceIS0_Ev8ABC_dims24hipblaslt_initializationbPT_mmmmmEUlmE0_EvS5_mmT0_
; %bb.0:
	s_clause 0x1
	s_load_b32 s2, s[0:1], 0x2c
	s_load_b128 s[4:7], s[0:1], 0x0
	s_waitcnt lgkmcnt(0)
	s_and_b32 s2, s2, 0xffff
	s_delay_alu instid0(SALU_CYCLE_1) | instskip(SKIP_2) | instid1(VALU_DEP_1)
	v_mad_u64_u32 v[1:2], null, s15, s2, v[0:1]
	v_mov_b32_e32 v2, 0
	s_mov_b32 s2, exec_lo
	v_cmpx_gt_u64_e64 s[6:7], v[1:2]
	s_cbranch_execz .LBB67_14
; %bb.1:
	s_load_b64 s[0:1], s[0:1], 0x10
	s_mov_b32 s2, 0x19660d
	s_waitcnt lgkmcnt(0)
	v_add_co_u32 v4, s0, v1, s0
	s_delay_alu instid0(VALU_DEP_1) | instskip(NEXT) | instid1(VALU_DEP_2)
	v_add_co_ci_u32_e64 v5, null, 0, s1, s0
	v_mad_u64_u32 v[0:1], null, v4, s2, 0x3c6ef35f
	s_delay_alu instid0(VALU_DEP_1) | instskip(NEXT) | instid1(VALU_DEP_1)
	v_mad_u64_u32 v[6:7], null, 0x19660d, v5, v[1:2]
	v_mov_b32_e32 v1, v6
	s_delay_alu instid0(VALU_DEP_1) | instskip(NEXT) | instid1(VALU_DEP_1)
	v_lshlrev_b64 v[6:7], 13, v[0:1]
	v_xor_b32_e32 v1, v7, v1
	s_delay_alu instid0(VALU_DEP_2) | instskip(NEXT) | instid1(VALU_DEP_1)
	v_xor_b32_e32 v0, v6, v0
	v_lshrrev_b64 v[6:7], 17, v[0:1]
	s_delay_alu instid0(VALU_DEP_1) | instskip(NEXT) | instid1(VALU_DEP_2)
	v_xor_b32_e32 v1, v7, v1
	v_xor_b32_e32 v0, v6, v0
	s_delay_alu instid0(VALU_DEP_1) | instskip(NEXT) | instid1(VALU_DEP_1)
	v_lshlrev_b64 v[6:7], 5, v[0:1]
	v_xor_b32_e32 v1, v7, v1
	s_delay_alu instid0(VALU_DEP_2) | instskip(NEXT) | instid1(VALU_DEP_1)
	v_xor_b32_e32 v0, v6, v0
	v_lshlrev_b64 v[6:7], 13, v[0:1]
	s_delay_alu instid0(VALU_DEP_1) | instskip(NEXT) | instid1(VALU_DEP_2)
	v_xor_b32_e32 v1, v7, v1
	v_xor_b32_e32 v0, v6, v0
	s_delay_alu instid0(VALU_DEP_1) | instskip(NEXT) | instid1(VALU_DEP_1)
	v_lshrrev_b64 v[6:7], 17, v[0:1]
	v_xor_b32_e32 v1, v7, v1
	s_delay_alu instid0(VALU_DEP_2) | instskip(NEXT) | instid1(VALU_DEP_1)
	v_xor_b32_e32 v0, v6, v0
	v_lshlrev_b64 v[6:7], 5, v[0:1]
	s_delay_alu instid0(VALU_DEP_1) | instskip(NEXT) | instid1(VALU_DEP_2)
	v_xor_b32_e32 v1, v7, v1
	v_xor_b32_e32 v0, v6, v0
	s_delay_alu instid0(VALU_DEP_1) | instskip(NEXT) | instid1(VALU_DEP_1)
	v_lshlrev_b64 v[6:7], 13, v[0:1]
	v_xor_b32_e32 v1, v7, v1
	s_delay_alu instid0(VALU_DEP_2) | instskip(NEXT) | instid1(VALU_DEP_1)
	v_xor_b32_e32 v0, v6, v0
	v_alignbit_b32 v1, v1, v0, 17
	s_delay_alu instid0(VALU_DEP_1) | instskip(NEXT) | instid1(VALU_DEP_1)
	v_xor_b32_e32 v0, v1, v0
	v_lshlrev_b32_e32 v1, 5, v0
	s_delay_alu instid0(VALU_DEP_1) | instskip(NEXT) | instid1(VALU_DEP_1)
	v_xor_b32_e32 v0, v1, v0
	v_mul_hi_u32 v1, 0xcccccccd, v0
	s_delay_alu instid0(VALU_DEP_1) | instskip(NEXT) | instid1(VALU_DEP_1)
	v_lshrrev_b32_e32 v1, 3, v1
	v_mul_lo_u32 v1, v1, 10
	s_delay_alu instid0(VALU_DEP_1) | instskip(NEXT) | instid1(VALU_DEP_1)
	v_sub_nc_u32_e32 v0, v0, v1
	v_add_nc_u32_e32 v0, 1, v0
	s_delay_alu instid0(VALU_DEP_1) | instskip(NEXT) | instid1(VALU_DEP_1)
	v_cvt_f32_u32_e32 v0, v0
	v_and_b32_e32 v3, 0x7f800000, v0
	v_and_b32_e32 v1, 0x7fffff, v0
	s_delay_alu instid0(VALU_DEP_2) | instskip(SKIP_1) | instid1(SALU_CYCLE_1)
	v_cmp_ne_u32_e32 vcc_lo, 0x7f800000, v3
                                        ; implicit-def: $vgpr3
	s_and_saveexec_b32 s0, vcc_lo
	s_xor_b32 s2, exec_lo, s0
	s_cbranch_execz .LBB67_11
; %bb.2:
	v_mov_b32_e32 v3, 0x7e
	s_mov_b32 s3, exec_lo
	v_cmpx_gt_u32_e32 0x43e00001, v0
	s_cbranch_execz .LBB67_10
; %bb.3:
	v_lshrrev_b32_e32 v12, 23, v0
	v_cmp_gt_u32_e32 vcc_lo, 0x800000, v0
	s_delay_alu instid0(VALU_DEP_2) | instskip(NEXT) | instid1(VALU_DEP_1)
	v_sub_nc_u32_e64 v3, 0x79, v12 clamp
	v_cndmask_b32_e64 v0, v3, 0x78, vcc_lo
	v_or_b32_e32 v3, 0x800000, v1
	s_delay_alu instid0(VALU_DEP_1) | instskip(SKIP_1) | instid1(VALU_DEP_2)
	v_dual_cndmask_b32 v1, v3, v1 :: v_dual_add_nc_u32 v6, 20, v0
	v_dual_mov_b32 v3, 0 :: v_dual_add_nc_u32 v10, 19, v0
	v_lshlrev_b64 v[6:7], v6, -1
	s_delay_alu instid0(VALU_DEP_3) | instskip(NEXT) | instid1(VALU_DEP_2)
	v_lshrrev_b64 v[8:9], v0, v[1:2]
	v_not_b32_e32 v11, v7
	s_delay_alu instid0(VALU_DEP_3) | instskip(SKIP_1) | instid1(VALU_DEP_4)
	v_not_b32_e32 v13, v6
	v_lshlrev_b64 v[6:7], v10, 1
	v_and_b32_e32 v2, 0x100000, v8
	s_delay_alu instid0(VALU_DEP_4) | instskip(NEXT) | instid1(VALU_DEP_4)
	v_and_b32_e32 v11, 0, v11
	v_and_b32_e32 v10, v1, v13
	v_add_nc_u32_e32 v1, 0xffffff88, v12
	s_delay_alu instid0(VALU_DEP_4) | instskip(SKIP_1) | instid1(VALU_DEP_4)
	v_cmp_eq_u64_e64 s0, 0, v[2:3]
	v_lshrrev_b32_e32 v2, 23, v8
	v_cmp_eq_u64_e64 s1, v[10:11], v[6:7]
	s_delay_alu instid0(VALU_DEP_4) | instskip(NEXT) | instid1(VALU_DEP_1)
	v_cndmask_b32_e64 v1, v1, 0xffffff89, vcc_lo
	v_add3_u32 v6, v1, v0, v2
	s_delay_alu instid0(VALU_DEP_3) | instskip(SKIP_2) | instid1(VALU_DEP_1)
	s_and_b32 vcc_lo, s0, s1
	s_mov_b32 s0, exec_lo
	v_subrev_co_ci_u32_e32 v7, vcc_lo, 0, v8, vcc_lo
                                        ; implicit-def: $vgpr2
	v_and_b32_e32 v0, 0xfffff, v7
	v_add_nc_u32_e32 v7, -1, v6
	s_delay_alu instid0(VALU_DEP_2) | instskip(SKIP_1) | instid1(VALU_DEP_3)
	v_add_co_u32 v0, vcc_lo, v0, v8
	v_add_co_ci_u32_e32 v1, vcc_lo, 0, v9, vcc_lo
	v_cmpx_ne_u32_e32 0, v7
	s_xor_b32 s0, exec_lo, s0
; %bb.4:
	s_delay_alu instid0(VALU_DEP_3) | instskip(SKIP_1) | instid1(VALU_DEP_2)
	v_and_b32_e32 v2, 0x1000000, v0
	v_bfe_u32 v8, v0, 24, 1
	v_cmp_eq_u64_e32 vcc_lo, 0, v[2:3]
	s_delay_alu instid0(VALU_DEP_2)
	v_lshrrev_b64 v[0:1], v8, v[0:1]
	v_cndmask_b32_e32 v2, v6, v7, vcc_lo
; %bb.5:
	s_and_not1_saveexec_b32 s0, s0
; %bb.6:
	s_delay_alu instid0(VALU_DEP_2)
	v_bfe_u32 v2, v0, 23, 1
; %bb.7:
	s_or_b32 exec_lo, exec_lo, s0
	s_delay_alu instid0(VALU_DEP_3) | instskip(NEXT) | instid1(VALU_DEP_2)
	v_lshrrev_b64 v[0:1], 20, v[0:1]
	v_cmp_gt_i32_e32 vcc_lo, 16, v2
	v_cmp_ne_u32_e64 s0, 0, v2
	v_mov_b32_e32 v3, 0
	s_delay_alu instid0(VALU_DEP_4) | instskip(NEXT) | instid1(VALU_DEP_1)
	v_dual_cndmask_b32 v1, 0, v1 :: v_dual_cndmask_b32 v0, 7, v0
	v_cmp_ne_u64_e32 vcc_lo, 0, v[0:1]
	s_delay_alu instid0(VALU_DEP_4) | instskip(NEXT) | instid1(SALU_CYCLE_1)
	s_or_b32 s1, s0, vcc_lo
	s_and_saveexec_b32 s0, s1
; %bb.8:
	v_min_i32_e32 v1, 15, v2
	s_delay_alu instid0(VALU_DEP_1) | instskip(NEXT) | instid1(VALU_DEP_1)
	v_lshlrev_b32_e32 v1, 3, v1
	v_and_or_b32 v3, v0, 7, v1
; %bb.9:
	s_or_b32 exec_lo, exec_lo, s0
.LBB67_10:
	s_delay_alu instid0(SALU_CYCLE_1)
	s_or_b32 exec_lo, exec_lo, s3
                                        ; implicit-def: $vgpr1_vgpr2
.LBB67_11:
	s_and_not1_saveexec_b32 s0, s2
; %bb.12:
	v_cmp_eq_u64_e32 vcc_lo, 0, v[1:2]
	v_mov_b32_e32 v0, 0x7e
	s_delay_alu instid0(VALU_DEP_1)
	v_cndmask_b32_e32 v3, 0x7f, v0, vcc_lo
; %bb.13:
	s_or_b32 exec_lo, exec_lo, s0
	v_add_co_u32 v0, vcc_lo, s4, v4
	v_add_co_ci_u32_e32 v1, vcc_lo, s5, v5, vcc_lo
	global_store_b8 v[0:1], v3, off
.LBB67_14:
	s_nop 0
	s_sendmsg sendmsg(MSG_DEALLOC_VGPRS)
	s_endpgm
	.section	.rodata,"a",@progbits
	.p2align	6, 0x0
	.amdhsa_kernel _Z11fill_kernelI12hipblaslt_f8Z21hipblaslt_init_deviceIS0_Ev8ABC_dims24hipblaslt_initializationbPT_mmmmmEUlmE0_EvS5_mmT0_
		.amdhsa_group_segment_fixed_size 0
		.amdhsa_private_segment_fixed_size 0
		.amdhsa_kernarg_size 288
		.amdhsa_user_sgpr_count 15
		.amdhsa_user_sgpr_dispatch_ptr 0
		.amdhsa_user_sgpr_queue_ptr 0
		.amdhsa_user_sgpr_kernarg_segment_ptr 1
		.amdhsa_user_sgpr_dispatch_id 0
		.amdhsa_user_sgpr_private_segment_size 0
		.amdhsa_wavefront_size32 1
		.amdhsa_uses_dynamic_stack 0
		.amdhsa_enable_private_segment 0
		.amdhsa_system_sgpr_workgroup_id_x 1
		.amdhsa_system_sgpr_workgroup_id_y 0
		.amdhsa_system_sgpr_workgroup_id_z 0
		.amdhsa_system_sgpr_workgroup_info 0
		.amdhsa_system_vgpr_workitem_id 0
		.amdhsa_next_free_vgpr 14
		.amdhsa_next_free_sgpr 16
		.amdhsa_reserve_vcc 1
		.amdhsa_float_round_mode_32 0
		.amdhsa_float_round_mode_16_64 0
		.amdhsa_float_denorm_mode_32 3
		.amdhsa_float_denorm_mode_16_64 3
		.amdhsa_dx10_clamp 1
		.amdhsa_ieee_mode 1
		.amdhsa_fp16_overflow 0
		.amdhsa_workgroup_processor_mode 1
		.amdhsa_memory_ordered 1
		.amdhsa_forward_progress 0
		.amdhsa_shared_vgpr_count 0
		.amdhsa_exception_fp_ieee_invalid_op 0
		.amdhsa_exception_fp_denorm_src 0
		.amdhsa_exception_fp_ieee_div_zero 0
		.amdhsa_exception_fp_ieee_overflow 0
		.amdhsa_exception_fp_ieee_underflow 0
		.amdhsa_exception_fp_ieee_inexact 0
		.amdhsa_exception_int_div_zero 0
	.end_amdhsa_kernel
	.section	.text._Z11fill_kernelI12hipblaslt_f8Z21hipblaslt_init_deviceIS0_Ev8ABC_dims24hipblaslt_initializationbPT_mmmmmEUlmE0_EvS5_mmT0_,"axG",@progbits,_Z11fill_kernelI12hipblaslt_f8Z21hipblaslt_init_deviceIS0_Ev8ABC_dims24hipblaslt_initializationbPT_mmmmmEUlmE0_EvS5_mmT0_,comdat
.Lfunc_end67:
	.size	_Z11fill_kernelI12hipblaslt_f8Z21hipblaslt_init_deviceIS0_Ev8ABC_dims24hipblaslt_initializationbPT_mmmmmEUlmE0_EvS5_mmT0_, .Lfunc_end67-_Z11fill_kernelI12hipblaslt_f8Z21hipblaslt_init_deviceIS0_Ev8ABC_dims24hipblaslt_initializationbPT_mmmmmEUlmE0_EvS5_mmT0_
                                        ; -- End function
	.section	.AMDGPU.csdata,"",@progbits
; Kernel info:
; codeLenInByte = 880
; NumSgprs: 18
; NumVgprs: 14
; ScratchSize: 0
; MemoryBound: 0
; FloatMode: 240
; IeeeMode: 1
; LDSByteSize: 0 bytes/workgroup (compile time only)
; SGPRBlocks: 2
; VGPRBlocks: 1
; NumSGPRsForWavesPerEU: 18
; NumVGPRsForWavesPerEU: 14
; Occupancy: 16
; WaveLimiterHint : 0
; COMPUTE_PGM_RSRC2:SCRATCH_EN: 0
; COMPUTE_PGM_RSRC2:USER_SGPR: 15
; COMPUTE_PGM_RSRC2:TRAP_HANDLER: 0
; COMPUTE_PGM_RSRC2:TGID_X_EN: 1
; COMPUTE_PGM_RSRC2:TGID_Y_EN: 0
; COMPUTE_PGM_RSRC2:TGID_Z_EN: 0
; COMPUTE_PGM_RSRC2:TIDIG_COMP_CNT: 0
	.section	.text._Z11fill_kernelI12hipblaslt_f8Z21hipblaslt_init_deviceIS0_Ev8ABC_dims24hipblaslt_initializationbPT_mmmmmEUlmE1_EvS5_mmT0_,"axG",@progbits,_Z11fill_kernelI12hipblaslt_f8Z21hipblaslt_init_deviceIS0_Ev8ABC_dims24hipblaslt_initializationbPT_mmmmmEUlmE1_EvS5_mmT0_,comdat
	.protected	_Z11fill_kernelI12hipblaslt_f8Z21hipblaslt_init_deviceIS0_Ev8ABC_dims24hipblaslt_initializationbPT_mmmmmEUlmE1_EvS5_mmT0_ ; -- Begin function _Z11fill_kernelI12hipblaslt_f8Z21hipblaslt_init_deviceIS0_Ev8ABC_dims24hipblaslt_initializationbPT_mmmmmEUlmE1_EvS5_mmT0_
	.globl	_Z11fill_kernelI12hipblaslt_f8Z21hipblaslt_init_deviceIS0_Ev8ABC_dims24hipblaslt_initializationbPT_mmmmmEUlmE1_EvS5_mmT0_
	.p2align	8
	.type	_Z11fill_kernelI12hipblaslt_f8Z21hipblaslt_init_deviceIS0_Ev8ABC_dims24hipblaslt_initializationbPT_mmmmmEUlmE1_EvS5_mmT0_,@function
_Z11fill_kernelI12hipblaslt_f8Z21hipblaslt_init_deviceIS0_Ev8ABC_dims24hipblaslt_initializationbPT_mmmmmEUlmE1_EvS5_mmT0_: ; @_Z11fill_kernelI12hipblaslt_f8Z21hipblaslt_init_deviceIS0_Ev8ABC_dims24hipblaslt_initializationbPT_mmmmmEUlmE1_EvS5_mmT0_
; %bb.0:
	s_clause 0x1
	s_load_b32 s2, s[0:1], 0x34
	s_load_b256 s[4:11], s[0:1], 0x0
	s_waitcnt lgkmcnt(0)
	s_and_b32 s2, s2, 0xffff
	s_delay_alu instid0(SALU_CYCLE_1) | instskip(SKIP_2) | instid1(VALU_DEP_1)
	v_mad_u64_u32 v[1:2], null, s15, s2, v[0:1]
	v_mov_b32_e32 v2, 0
	s_mov_b32 s2, exec_lo
	v_cmpx_gt_u64_e64 s[6:7], v[1:2]
	s_cbranch_execz .LBB68_22
; %bb.1:
	v_add_co_u32 v4, s2, v1, s8
	s_delay_alu instid0(VALU_DEP_1)
	v_add_co_ci_u32_e64 v5, null, 0, s9, s2
	s_mov_b32 s2, 0x19660d
	s_delay_alu instid0(VALU_DEP_2) | instid1(SALU_CYCLE_1)
	v_mad_u64_u32 v[0:1], null, v4, s2, 0x3c6ef35f
	s_load_b64 s[2:3], s[0:1], 0x20
	s_delay_alu instid0(VALU_DEP_1) | instskip(NEXT) | instid1(VALU_DEP_1)
	v_mad_u64_u32 v[6:7], null, 0x19660d, v5, v[1:2]
	v_mov_b32_e32 v1, v6
	s_delay_alu instid0(VALU_DEP_1) | instskip(NEXT) | instid1(VALU_DEP_1)
	v_lshlrev_b64 v[6:7], 13, v[0:1]
	v_xor_b32_e32 v1, v7, v1
	s_delay_alu instid0(VALU_DEP_2) | instskip(NEXT) | instid1(VALU_DEP_1)
	v_xor_b32_e32 v0, v6, v0
	v_lshrrev_b64 v[6:7], 17, v[0:1]
	s_delay_alu instid0(VALU_DEP_1) | instskip(NEXT) | instid1(VALU_DEP_2)
	v_xor_b32_e32 v1, v7, v1
	v_xor_b32_e32 v0, v6, v0
	s_delay_alu instid0(VALU_DEP_1) | instskip(NEXT) | instid1(VALU_DEP_1)
	v_lshlrev_b64 v[6:7], 5, v[0:1]
	v_xor_b32_e32 v1, v7, v1
	s_delay_alu instid0(VALU_DEP_2) | instskip(NEXT) | instid1(VALU_DEP_1)
	v_xor_b32_e32 v0, v6, v0
	v_lshlrev_b64 v[6:7], 13, v[0:1]
	s_delay_alu instid0(VALU_DEP_1) | instskip(NEXT) | instid1(VALU_DEP_2)
	v_xor_b32_e32 v1, v7, v1
	v_xor_b32_e32 v0, v6, v0
	s_delay_alu instid0(VALU_DEP_1) | instskip(NEXT) | instid1(VALU_DEP_1)
	v_lshrrev_b64 v[6:7], 17, v[0:1]
	v_xor_b32_e32 v1, v7, v1
	s_delay_alu instid0(VALU_DEP_2) | instskip(NEXT) | instid1(VALU_DEP_1)
	v_xor_b32_e32 v0, v6, v0
	v_lshlrev_b64 v[6:7], 5, v[0:1]
	s_delay_alu instid0(VALU_DEP_1) | instskip(NEXT) | instid1(VALU_DEP_2)
	v_xor_b32_e32 v1, v7, v1
	v_xor_b32_e32 v0, v6, v0
	s_delay_alu instid0(VALU_DEP_1) | instskip(NEXT) | instid1(VALU_DEP_1)
	v_lshlrev_b64 v[6:7], 13, v[0:1]
	v_xor_b32_e32 v1, v7, v1
	s_delay_alu instid0(VALU_DEP_2) | instskip(SKIP_1) | instid1(VALU_DEP_2)
	v_xor_b32_e32 v0, v6, v0
	v_mov_b32_e32 v7, v2
	v_alignbit_b32 v1, v1, v0, 17
	s_delay_alu instid0(VALU_DEP_1) | instskip(NEXT) | instid1(VALU_DEP_1)
	v_xor_b32_e32 v0, v1, v0
	v_lshlrev_b32_e32 v1, 5, v0
	s_delay_alu instid0(VALU_DEP_1) | instskip(NEXT) | instid1(VALU_DEP_1)
	v_xor_b32_e32 v0, v1, v0
	v_mul_hi_u32 v1, 0xcccccccd, v0
	s_delay_alu instid0(VALU_DEP_1) | instskip(NEXT) | instid1(VALU_DEP_1)
	v_lshrrev_b32_e32 v1, 3, v1
	v_mul_lo_u32 v1, v1, 10
	s_delay_alu instid0(VALU_DEP_1) | instskip(NEXT) | instid1(VALU_DEP_1)
	v_sub_nc_u32_e32 v0, v0, v1
	v_add_nc_u32_e32 v0, 1, v0
	s_delay_alu instid0(VALU_DEP_1) | instskip(NEXT) | instid1(VALU_DEP_1)
	v_cvt_f32_u32_e32 v0, v0
	v_and_b32_e32 v6, 0x7f800000, v0
	v_and_b32_e32 v1, 0x7fffff, v0
	s_delay_alu instid0(VALU_DEP_2) | instskip(SKIP_1) | instid1(SALU_CYCLE_1)
	v_cmp_ne_u64_e32 vcc_lo, 0x7f800000, v[6:7]
                                        ; implicit-def: $vgpr6
	s_and_saveexec_b32 s0, vcc_lo
	s_xor_b32 s6, exec_lo, s0
	s_cbranch_execz .LBB68_11
; %bb.2:
	v_mov_b32_e32 v6, 0x7e
	s_mov_b32 s7, exec_lo
	v_cmpx_gt_u32_e32 0x43e00001, v0
	s_cbranch_execz .LBB68_10
; %bb.3:
	v_lshrrev_b32_e32 v12, 23, v0
	v_cmp_gt_u32_e32 vcc_lo, 0x800000, v0
	s_delay_alu instid0(VALU_DEP_2) | instskip(NEXT) | instid1(VALU_DEP_1)
	v_sub_nc_u32_e64 v3, 0x79, v12 clamp
	v_cndmask_b32_e64 v0, v3, 0x78, vcc_lo
	v_or_b32_e32 v3, 0x800000, v1
	s_delay_alu instid0(VALU_DEP_1) | instskip(SKIP_1) | instid1(VALU_DEP_2)
	v_dual_cndmask_b32 v1, v3, v1 :: v_dual_add_nc_u32 v6, 20, v0
	v_dual_mov_b32 v3, 0 :: v_dual_add_nc_u32 v10, 19, v0
	v_lshlrev_b64 v[6:7], v6, -1
	s_delay_alu instid0(VALU_DEP_3) | instskip(NEXT) | instid1(VALU_DEP_2)
	v_lshrrev_b64 v[8:9], v0, v[1:2]
	v_not_b32_e32 v11, v7
	s_delay_alu instid0(VALU_DEP_3) | instskip(SKIP_1) | instid1(VALU_DEP_4)
	v_not_b32_e32 v13, v6
	v_lshlrev_b64 v[6:7], v10, 1
	v_and_b32_e32 v2, 0x100000, v8
	s_delay_alu instid0(VALU_DEP_4) | instskip(NEXT) | instid1(VALU_DEP_4)
	v_and_b32_e32 v11, 0, v11
	v_and_b32_e32 v10, v1, v13
	v_add_nc_u32_e32 v1, 0xffffff88, v12
	s_delay_alu instid0(VALU_DEP_4) | instskip(SKIP_1) | instid1(VALU_DEP_4)
	v_cmp_eq_u64_e64 s0, 0, v[2:3]
	v_lshrrev_b32_e32 v2, 23, v8
	v_cmp_eq_u64_e64 s1, v[10:11], v[6:7]
	s_delay_alu instid0(VALU_DEP_4) | instskip(NEXT) | instid1(VALU_DEP_1)
	v_cndmask_b32_e64 v1, v1, 0xffffff89, vcc_lo
	v_add3_u32 v6, v1, v0, v2
	s_delay_alu instid0(VALU_DEP_3) | instskip(SKIP_2) | instid1(VALU_DEP_1)
	s_and_b32 vcc_lo, s0, s1
	s_mov_b32 s0, exec_lo
	v_subrev_co_ci_u32_e32 v7, vcc_lo, 0, v8, vcc_lo
                                        ; implicit-def: $vgpr2
	v_and_b32_e32 v0, 0xfffff, v7
	v_add_nc_u32_e32 v7, -1, v6
	s_delay_alu instid0(VALU_DEP_2) | instskip(SKIP_1) | instid1(VALU_DEP_3)
	v_add_co_u32 v0, vcc_lo, v0, v8
	v_add_co_ci_u32_e32 v1, vcc_lo, 0, v9, vcc_lo
	v_cmpx_ne_u32_e32 0, v7
	s_xor_b32 s0, exec_lo, s0
; %bb.4:
	s_delay_alu instid0(VALU_DEP_3) | instskip(SKIP_1) | instid1(VALU_DEP_2)
	v_and_b32_e32 v2, 0x1000000, v0
	v_bfe_u32 v8, v0, 24, 1
	v_cmp_eq_u64_e32 vcc_lo, 0, v[2:3]
	s_delay_alu instid0(VALU_DEP_2)
	v_lshrrev_b64 v[0:1], v8, v[0:1]
	v_cndmask_b32_e32 v2, v6, v7, vcc_lo
; %bb.5:
	s_and_not1_saveexec_b32 s0, s0
; %bb.6:
	s_delay_alu instid0(VALU_DEP_2)
	v_bfe_u32 v2, v0, 23, 1
; %bb.7:
	s_or_b32 exec_lo, exec_lo, s0
	s_delay_alu instid0(VALU_DEP_3) | instskip(NEXT) | instid1(VALU_DEP_2)
	v_lshrrev_b64 v[0:1], 20, v[0:1]
	v_cmp_gt_i32_e32 vcc_lo, 16, v2
	v_cmp_ne_u32_e64 s0, 0, v2
	s_delay_alu instid0(VALU_DEP_3) | instskip(NEXT) | instid1(VALU_DEP_4)
	v_dual_mov_b32 v6, 0 :: v_dual_cndmask_b32 v1, 0, v1
	v_cndmask_b32_e32 v0, 7, v0, vcc_lo
	s_delay_alu instid0(VALU_DEP_1) | instskip(NEXT) | instid1(VALU_DEP_4)
	v_cmp_ne_u64_e32 vcc_lo, 0, v[0:1]
	s_or_b32 s1, s0, vcc_lo
	s_delay_alu instid0(SALU_CYCLE_1)
	s_and_saveexec_b32 s0, s1
; %bb.8:
	v_min_i32_e32 v1, 15, v2
	s_delay_alu instid0(VALU_DEP_1) | instskip(NEXT) | instid1(VALU_DEP_1)
	v_lshlrev_b32_e32 v1, 3, v1
	v_and_or_b32 v6, v0, 7, v1
; %bb.9:
	s_or_b32 exec_lo, exec_lo, s0
.LBB68_10:
	s_delay_alu instid0(SALU_CYCLE_1)
	s_or_b32 exec_lo, exec_lo, s7
                                        ; implicit-def: $vgpr1_vgpr2
.LBB68_11:
	s_and_not1_saveexec_b32 s0, s6
; %bb.12:
	v_cmp_eq_u64_e32 vcc_lo, 0, v[1:2]
	v_mov_b32_e32 v0, 0x7e
	s_delay_alu instid0(VALU_DEP_1)
	v_cndmask_b32_e32 v6, 0x7f, v0, vcc_lo
; %bb.13:
	s_or_b32 exec_lo, exec_lo, s0
	v_or_b32_e32 v1, s11, v5
	v_mov_b32_e32 v0, 0
	s_delay_alu instid0(VALU_DEP_1) | instskip(SKIP_1) | instid1(SALU_CYCLE_1)
	v_cmp_ne_u64_e32 vcc_lo, 0, v[0:1]
                                        ; implicit-def: $vgpr0_vgpr1
	s_and_saveexec_b32 s0, vcc_lo
	s_xor_b32 s1, exec_lo, s0
	s_cbranch_execz .LBB68_15
; %bb.14:
	v_cvt_f32_u32_e32 v0, s10
	v_cvt_f32_u32_e32 v1, s11
	s_sub_u32 s0, 0, s10
	s_subb_u32 s6, 0, s11
	s_delay_alu instid0(VALU_DEP_1) | instskip(NEXT) | instid1(VALU_DEP_1)
	v_fmamk_f32 v0, v1, 0x4f800000, v0
	v_rcp_f32_e32 v0, v0
	s_waitcnt_depctr 0xfff
	v_mul_f32_e32 v0, 0x5f7ffffc, v0
	s_delay_alu instid0(VALU_DEP_1) | instskip(NEXT) | instid1(VALU_DEP_1)
	v_mul_f32_e32 v1, 0x2f800000, v0
	v_trunc_f32_e32 v1, v1
	s_delay_alu instid0(VALU_DEP_1) | instskip(SKIP_1) | instid1(VALU_DEP_2)
	v_fmamk_f32 v0, v1, 0xcf800000, v0
	v_cvt_u32_f32_e32 v1, v1
	v_cvt_u32_f32_e32 v0, v0
	s_delay_alu instid0(VALU_DEP_2) | instskip(NEXT) | instid1(VALU_DEP_2)
	v_mul_lo_u32 v2, s0, v1
	v_mul_hi_u32 v3, s0, v0
	v_mul_lo_u32 v7, s6, v0
	s_delay_alu instid0(VALU_DEP_2) | instskip(SKIP_1) | instid1(VALU_DEP_2)
	v_add_nc_u32_e32 v2, v3, v2
	v_mul_lo_u32 v3, s0, v0
	v_add_nc_u32_e32 v2, v2, v7
	s_delay_alu instid0(VALU_DEP_2) | instskip(NEXT) | instid1(VALU_DEP_2)
	v_mul_hi_u32 v7, v0, v3
	v_mul_lo_u32 v8, v0, v2
	v_mul_hi_u32 v9, v0, v2
	v_mul_hi_u32 v10, v1, v3
	v_mul_lo_u32 v3, v1, v3
	v_mul_hi_u32 v11, v1, v2
	v_mul_lo_u32 v2, v1, v2
	v_add_co_u32 v7, vcc_lo, v7, v8
	v_add_co_ci_u32_e32 v8, vcc_lo, 0, v9, vcc_lo
	s_delay_alu instid0(VALU_DEP_2) | instskip(NEXT) | instid1(VALU_DEP_2)
	v_add_co_u32 v3, vcc_lo, v7, v3
	v_add_co_ci_u32_e32 v3, vcc_lo, v8, v10, vcc_lo
	v_add_co_ci_u32_e32 v7, vcc_lo, 0, v11, vcc_lo
	s_delay_alu instid0(VALU_DEP_2) | instskip(NEXT) | instid1(VALU_DEP_2)
	v_add_co_u32 v2, vcc_lo, v3, v2
	v_add_co_ci_u32_e32 v3, vcc_lo, 0, v7, vcc_lo
	s_delay_alu instid0(VALU_DEP_2) | instskip(NEXT) | instid1(VALU_DEP_2)
	v_add_co_u32 v0, vcc_lo, v0, v2
	v_add_co_ci_u32_e32 v1, vcc_lo, v1, v3, vcc_lo
	s_delay_alu instid0(VALU_DEP_2) | instskip(SKIP_1) | instid1(VALU_DEP_3)
	v_mul_hi_u32 v2, s0, v0
	v_mul_lo_u32 v7, s6, v0
	v_mul_lo_u32 v3, s0, v1
	s_delay_alu instid0(VALU_DEP_1) | instskip(SKIP_1) | instid1(VALU_DEP_2)
	v_add_nc_u32_e32 v2, v2, v3
	v_mul_lo_u32 v3, s0, v0
	v_add_nc_u32_e32 v2, v2, v7
	s_delay_alu instid0(VALU_DEP_2) | instskip(NEXT) | instid1(VALU_DEP_2)
	v_mul_hi_u32 v7, v0, v3
	v_mul_lo_u32 v8, v0, v2
	v_mul_hi_u32 v9, v0, v2
	v_mul_hi_u32 v10, v1, v3
	v_mul_lo_u32 v3, v1, v3
	v_mul_hi_u32 v11, v1, v2
	v_mul_lo_u32 v2, v1, v2
	v_add_co_u32 v7, vcc_lo, v7, v8
	v_add_co_ci_u32_e32 v8, vcc_lo, 0, v9, vcc_lo
	s_delay_alu instid0(VALU_DEP_2) | instskip(NEXT) | instid1(VALU_DEP_2)
	v_add_co_u32 v3, vcc_lo, v7, v3
	v_add_co_ci_u32_e32 v3, vcc_lo, v8, v10, vcc_lo
	v_add_co_ci_u32_e32 v7, vcc_lo, 0, v11, vcc_lo
	s_delay_alu instid0(VALU_DEP_2) | instskip(NEXT) | instid1(VALU_DEP_2)
	v_add_co_u32 v2, vcc_lo, v3, v2
	v_add_co_ci_u32_e32 v3, vcc_lo, 0, v7, vcc_lo
	s_delay_alu instid0(VALU_DEP_2) | instskip(NEXT) | instid1(VALU_DEP_2)
	v_add_co_u32 v7, vcc_lo, v0, v2
	v_add_co_ci_u32_e32 v9, vcc_lo, v1, v3, vcc_lo
	s_delay_alu instid0(VALU_DEP_2) | instskip(SKIP_1) | instid1(VALU_DEP_3)
	v_mul_hi_u32 v10, v4, v7
	v_mad_u64_u32 v[2:3], null, v5, v7, 0
	v_mad_u64_u32 v[0:1], null, v4, v9, 0
	;; [unrolled: 1-line block ×3, first 2 shown]
	s_delay_alu instid0(VALU_DEP_2) | instskip(NEXT) | instid1(VALU_DEP_3)
	v_add_co_u32 v0, vcc_lo, v10, v0
	v_add_co_ci_u32_e32 v1, vcc_lo, 0, v1, vcc_lo
	s_delay_alu instid0(VALU_DEP_2) | instskip(NEXT) | instid1(VALU_DEP_2)
	v_add_co_u32 v0, vcc_lo, v0, v2
	v_add_co_ci_u32_e32 v0, vcc_lo, v1, v3, vcc_lo
	v_add_co_ci_u32_e32 v1, vcc_lo, 0, v8, vcc_lo
	s_delay_alu instid0(VALU_DEP_2) | instskip(NEXT) | instid1(VALU_DEP_2)
	v_add_co_u32 v2, vcc_lo, v0, v7
	v_add_co_ci_u32_e32 v3, vcc_lo, 0, v1, vcc_lo
	s_delay_alu instid0(VALU_DEP_2) | instskip(SKIP_1) | instid1(VALU_DEP_3)
	v_mul_lo_u32 v7, s11, v2
	v_mad_u64_u32 v[0:1], null, s10, v2, 0
	v_mul_lo_u32 v2, s10, v3
	s_delay_alu instid0(VALU_DEP_2) | instskip(NEXT) | instid1(VALU_DEP_2)
	v_sub_co_u32 v0, vcc_lo, v4, v0
	v_add3_u32 v1, v1, v2, v7
	s_delay_alu instid0(VALU_DEP_1) | instskip(NEXT) | instid1(VALU_DEP_1)
	v_sub_nc_u32_e32 v2, v5, v1
	v_subrev_co_ci_u32_e64 v2, s0, s11, v2, vcc_lo
	v_sub_co_ci_u32_e32 v1, vcc_lo, v5, v1, vcc_lo
	v_sub_co_u32 v3, vcc_lo, v0, s10
	s_delay_alu instid0(VALU_DEP_1) | instskip(SKIP_3) | instid1(VALU_DEP_3)
	v_subrev_co_ci_u32_e64 v7, s0, 0, v2, vcc_lo
	v_cmp_le_u32_e64 s0, s10, v0
	v_subrev_co_ci_u32_e32 v2, vcc_lo, s11, v2, vcc_lo
	v_cmp_le_u32_e32 vcc_lo, s11, v1
	v_cndmask_b32_e64 v8, 0, -1, s0
	v_cmp_le_u32_e64 s0, s10, v3
	v_cndmask_b32_e64 v11, 0, -1, vcc_lo
	v_cmp_eq_u32_e32 vcc_lo, s11, v7
	s_delay_alu instid0(VALU_DEP_3) | instskip(SKIP_1) | instid1(VALU_DEP_1)
	v_cndmask_b32_e64 v9, 0, -1, s0
	v_cmp_le_u32_e64 s0, s11, v7
	v_cndmask_b32_e64 v10, 0, -1, s0
	v_cmp_eq_u32_e64 s0, s11, v1
	s_delay_alu instid0(VALU_DEP_2) | instskip(SKIP_2) | instid1(VALU_DEP_3)
	v_cndmask_b32_e32 v9, v10, v9, vcc_lo
	v_sub_co_u32 v10, vcc_lo, v3, s10
	v_subrev_co_ci_u32_e32 v2, vcc_lo, 0, v2, vcc_lo
	v_cmp_ne_u32_e32 vcc_lo, 0, v9
	v_cndmask_b32_e64 v8, v11, v8, s0
	s_delay_alu instid0(VALU_DEP_3) | instskip(SKIP_1) | instid1(VALU_DEP_3)
	v_cndmask_b32_e32 v2, v7, v2, vcc_lo
	v_cndmask_b32_e32 v3, v3, v10, vcc_lo
	v_cmp_ne_u32_e32 vcc_lo, 0, v8
	s_delay_alu instid0(VALU_DEP_2)
	v_dual_cndmask_b32 v1, v1, v2 :: v_dual_cndmask_b32 v0, v0, v3
.LBB68_15:
	s_and_not1_saveexec_b32 s0, s1
	s_cbranch_execz .LBB68_17
; %bb.16:
	v_cvt_f32_u32_e32 v0, s10
	s_sub_i32 s1, 0, s10
	s_delay_alu instid0(VALU_DEP_1) | instskip(SKIP_2) | instid1(VALU_DEP_1)
	v_rcp_iflag_f32_e32 v0, v0
	s_waitcnt_depctr 0xfff
	v_mul_f32_e32 v0, 0x4f7ffffe, v0
	v_cvt_u32_f32_e32 v0, v0
	s_delay_alu instid0(VALU_DEP_1) | instskip(NEXT) | instid1(VALU_DEP_1)
	v_mul_lo_u32 v1, s1, v0
	v_mul_hi_u32 v1, v0, v1
	s_delay_alu instid0(VALU_DEP_1) | instskip(NEXT) | instid1(VALU_DEP_1)
	v_add_nc_u32_e32 v0, v0, v1
	v_mul_hi_u32 v0, v4, v0
	s_delay_alu instid0(VALU_DEP_1) | instskip(NEXT) | instid1(VALU_DEP_1)
	v_mul_lo_u32 v0, v0, s10
	v_sub_nc_u32_e32 v0, v4, v0
	s_delay_alu instid0(VALU_DEP_1) | instskip(SKIP_1) | instid1(VALU_DEP_2)
	v_subrev_nc_u32_e32 v1, s10, v0
	v_cmp_le_u32_e32 vcc_lo, s10, v0
	v_cndmask_b32_e32 v0, v0, v1, vcc_lo
	s_delay_alu instid0(VALU_DEP_1) | instskip(SKIP_1) | instid1(VALU_DEP_2)
	v_subrev_nc_u32_e32 v1, s10, v0
	v_cmp_le_u32_e32 vcc_lo, s10, v0
	v_dual_cndmask_b32 v0, v0, v1 :: v_dual_mov_b32 v1, 0
.LBB68_17:
	s_or_b32 exec_lo, exec_lo, s0
	s_waitcnt lgkmcnt(0)
	s_delay_alu instid0(VALU_DEP_1) | instskip(SKIP_1) | instid1(VALU_DEP_1)
	v_or_b32_e32 v3, s3, v1
	v_mov_b32_e32 v2, 0
	v_cmp_ne_u64_e32 vcc_lo, 0, v[2:3]
                                        ; implicit-def: $vgpr2_vgpr3
	s_and_saveexec_b32 s0, vcc_lo
	s_delay_alu instid0(SALU_CYCLE_1)
	s_xor_b32 s1, exec_lo, s0
	s_cbranch_execz .LBB68_19
; %bb.18:
	v_cvt_f32_u32_e32 v2, s2
	v_cvt_f32_u32_e32 v3, s3
	s_sub_u32 s0, 0, s2
	s_subb_u32 s6, 0, s3
	s_delay_alu instid0(VALU_DEP_1) | instskip(NEXT) | instid1(VALU_DEP_1)
	v_fmamk_f32 v2, v3, 0x4f800000, v2
	v_rcp_f32_e32 v2, v2
	s_waitcnt_depctr 0xfff
	v_mul_f32_e32 v2, 0x5f7ffffc, v2
	s_delay_alu instid0(VALU_DEP_1) | instskip(NEXT) | instid1(VALU_DEP_1)
	v_mul_f32_e32 v3, 0x2f800000, v2
	v_trunc_f32_e32 v3, v3
	s_delay_alu instid0(VALU_DEP_1) | instskip(SKIP_1) | instid1(VALU_DEP_2)
	v_fmamk_f32 v2, v3, 0xcf800000, v2
	v_cvt_u32_f32_e32 v3, v3
	v_cvt_u32_f32_e32 v2, v2
	s_delay_alu instid0(VALU_DEP_2) | instskip(NEXT) | instid1(VALU_DEP_2)
	v_mul_lo_u32 v7, s0, v3
	v_mul_hi_u32 v8, s0, v2
	v_mul_lo_u32 v9, s6, v2
	s_delay_alu instid0(VALU_DEP_2) | instskip(SKIP_1) | instid1(VALU_DEP_2)
	v_add_nc_u32_e32 v7, v8, v7
	v_mul_lo_u32 v8, s0, v2
	v_add_nc_u32_e32 v7, v7, v9
	s_delay_alu instid0(VALU_DEP_2) | instskip(NEXT) | instid1(VALU_DEP_2)
	v_mul_hi_u32 v9, v2, v8
	v_mul_lo_u32 v10, v2, v7
	v_mul_hi_u32 v11, v2, v7
	v_mul_hi_u32 v12, v3, v8
	v_mul_lo_u32 v8, v3, v8
	v_mul_hi_u32 v13, v3, v7
	v_mul_lo_u32 v7, v3, v7
	v_add_co_u32 v9, vcc_lo, v9, v10
	v_add_co_ci_u32_e32 v10, vcc_lo, 0, v11, vcc_lo
	s_delay_alu instid0(VALU_DEP_2) | instskip(NEXT) | instid1(VALU_DEP_2)
	v_add_co_u32 v8, vcc_lo, v9, v8
	v_add_co_ci_u32_e32 v8, vcc_lo, v10, v12, vcc_lo
	v_add_co_ci_u32_e32 v9, vcc_lo, 0, v13, vcc_lo
	s_delay_alu instid0(VALU_DEP_2) | instskip(NEXT) | instid1(VALU_DEP_2)
	v_add_co_u32 v7, vcc_lo, v8, v7
	v_add_co_ci_u32_e32 v8, vcc_lo, 0, v9, vcc_lo
	s_delay_alu instid0(VALU_DEP_2) | instskip(NEXT) | instid1(VALU_DEP_2)
	v_add_co_u32 v2, vcc_lo, v2, v7
	v_add_co_ci_u32_e32 v3, vcc_lo, v3, v8, vcc_lo
	s_delay_alu instid0(VALU_DEP_2) | instskip(SKIP_1) | instid1(VALU_DEP_3)
	v_mul_hi_u32 v7, s0, v2
	v_mul_lo_u32 v9, s6, v2
	v_mul_lo_u32 v8, s0, v3
	s_delay_alu instid0(VALU_DEP_1) | instskip(SKIP_1) | instid1(VALU_DEP_2)
	v_add_nc_u32_e32 v7, v7, v8
	v_mul_lo_u32 v8, s0, v2
	v_add_nc_u32_e32 v7, v7, v9
	s_delay_alu instid0(VALU_DEP_2) | instskip(NEXT) | instid1(VALU_DEP_2)
	v_mul_hi_u32 v9, v2, v8
	v_mul_lo_u32 v10, v2, v7
	v_mul_hi_u32 v11, v2, v7
	v_mul_hi_u32 v12, v3, v8
	v_mul_lo_u32 v8, v3, v8
	v_mul_hi_u32 v13, v3, v7
	v_mul_lo_u32 v7, v3, v7
	v_add_co_u32 v9, vcc_lo, v9, v10
	v_add_co_ci_u32_e32 v10, vcc_lo, 0, v11, vcc_lo
	s_delay_alu instid0(VALU_DEP_2) | instskip(NEXT) | instid1(VALU_DEP_2)
	v_add_co_u32 v8, vcc_lo, v9, v8
	v_add_co_ci_u32_e32 v8, vcc_lo, v10, v12, vcc_lo
	v_add_co_ci_u32_e32 v9, vcc_lo, 0, v13, vcc_lo
	s_delay_alu instid0(VALU_DEP_2) | instskip(NEXT) | instid1(VALU_DEP_2)
	v_add_co_u32 v7, vcc_lo, v8, v7
	v_add_co_ci_u32_e32 v8, vcc_lo, 0, v9, vcc_lo
	s_delay_alu instid0(VALU_DEP_2) | instskip(NEXT) | instid1(VALU_DEP_2)
	v_add_co_u32 v9, vcc_lo, v2, v7
	v_add_co_ci_u32_e32 v11, vcc_lo, v3, v8, vcc_lo
	s_delay_alu instid0(VALU_DEP_2) | instskip(SKIP_1) | instid1(VALU_DEP_3)
	v_mul_hi_u32 v12, v0, v9
	v_mad_u64_u32 v[7:8], null, v1, v9, 0
	v_mad_u64_u32 v[2:3], null, v0, v11, 0
	;; [unrolled: 1-line block ×3, first 2 shown]
	s_delay_alu instid0(VALU_DEP_2) | instskip(NEXT) | instid1(VALU_DEP_3)
	v_add_co_u32 v2, vcc_lo, v12, v2
	v_add_co_ci_u32_e32 v3, vcc_lo, 0, v3, vcc_lo
	s_delay_alu instid0(VALU_DEP_2) | instskip(NEXT) | instid1(VALU_DEP_2)
	v_add_co_u32 v2, vcc_lo, v2, v7
	v_add_co_ci_u32_e32 v2, vcc_lo, v3, v8, vcc_lo
	v_add_co_ci_u32_e32 v3, vcc_lo, 0, v10, vcc_lo
	s_delay_alu instid0(VALU_DEP_2) | instskip(NEXT) | instid1(VALU_DEP_2)
	v_add_co_u32 v7, vcc_lo, v2, v9
	v_add_co_ci_u32_e32 v8, vcc_lo, 0, v3, vcc_lo
	s_delay_alu instid0(VALU_DEP_2) | instskip(SKIP_1) | instid1(VALU_DEP_3)
	v_mul_lo_u32 v9, s3, v7
	v_mad_u64_u32 v[2:3], null, s2, v7, 0
	v_mul_lo_u32 v8, s2, v8
	s_delay_alu instid0(VALU_DEP_2) | instskip(NEXT) | instid1(VALU_DEP_2)
	v_sub_co_u32 v2, vcc_lo, v0, v2
	v_add3_u32 v3, v3, v8, v9
	v_add_co_u32 v9, s0, v7, 2
	s_delay_alu instid0(VALU_DEP_2) | instskip(NEXT) | instid1(VALU_DEP_1)
	v_sub_nc_u32_e32 v8, v1, v3
	v_subrev_co_ci_u32_e64 v8, s0, s3, v8, vcc_lo
	v_sub_co_u32 v10, s0, v2, s2
	v_sub_co_ci_u32_e32 v1, vcc_lo, v1, v3, vcc_lo
	s_delay_alu instid0(VALU_DEP_3) | instskip(NEXT) | instid1(VALU_DEP_3)
	v_subrev_co_ci_u32_e64 v8, s0, 0, v8, s0
	v_cmp_le_u32_e32 vcc_lo, s2, v10
	v_cndmask_b32_e64 v3, 0, -1, vcc_lo
	s_delay_alu instid0(VALU_DEP_3)
	v_cmp_le_u32_e32 vcc_lo, s3, v8
	v_cndmask_b32_e64 v10, 0, -1, vcc_lo
	v_cmp_le_u32_e32 vcc_lo, s2, v2
	v_cndmask_b32_e64 v2, 0, -1, vcc_lo
	;; [unrolled: 2-line block ×3, first 2 shown]
	v_cmp_eq_u32_e32 vcc_lo, s3, v8
	v_cndmask_b32_e32 v3, v10, v3, vcc_lo
	v_add_co_u32 v8, vcc_lo, v7, 1
	v_cmp_eq_u32_e32 vcc_lo, s3, v1
	v_cndmask_b32_e32 v1, v11, v2, vcc_lo
	s_delay_alu instid0(VALU_DEP_4) | instskip(NEXT) | instid1(VALU_DEP_4)
	v_cmp_ne_u32_e32 vcc_lo, 0, v3
	v_cndmask_b32_e32 v2, v8, v9, vcc_lo
	s_delay_alu instid0(VALU_DEP_3) | instskip(NEXT) | instid1(VALU_DEP_2)
	v_cmp_ne_u32_e32 vcc_lo, 0, v1
	v_cndmask_b32_e32 v2, v7, v2, vcc_lo
.LBB68_19:
	s_and_not1_saveexec_b32 s0, s1
	s_cbranch_execz .LBB68_21
; %bb.20:
	v_cvt_f32_u32_e32 v1, s2
	s_sub_i32 s1, 0, s2
	s_delay_alu instid0(VALU_DEP_1) | instskip(SKIP_2) | instid1(VALU_DEP_1)
	v_rcp_iflag_f32_e32 v1, v1
	s_waitcnt_depctr 0xfff
	v_mul_f32_e32 v1, 0x4f7ffffe, v1
	v_cvt_u32_f32_e32 v1, v1
	s_delay_alu instid0(VALU_DEP_1) | instskip(NEXT) | instid1(VALU_DEP_1)
	v_mul_lo_u32 v2, s1, v1
	v_mul_hi_u32 v2, v1, v2
	s_delay_alu instid0(VALU_DEP_1) | instskip(NEXT) | instid1(VALU_DEP_1)
	v_add_nc_u32_e32 v1, v1, v2
	v_mul_hi_u32 v1, v0, v1
	s_delay_alu instid0(VALU_DEP_1) | instskip(SKIP_1) | instid1(VALU_DEP_2)
	v_mul_lo_u32 v2, v1, s2
	v_add_nc_u32_e32 v3, 1, v1
	v_sub_nc_u32_e32 v2, v0, v2
	s_delay_alu instid0(VALU_DEP_1) | instskip(SKIP_1) | instid1(VALU_DEP_2)
	v_subrev_nc_u32_e32 v7, s2, v2
	v_cmp_le_u32_e32 vcc_lo, s2, v2
	v_cndmask_b32_e32 v2, v2, v7, vcc_lo
	v_cndmask_b32_e32 v1, v1, v3, vcc_lo
	s_delay_alu instid0(VALU_DEP_2) | instskip(NEXT) | instid1(VALU_DEP_2)
	v_cmp_le_u32_e32 vcc_lo, s2, v2
	v_add_nc_u32_e32 v3, 1, v1
	s_delay_alu instid0(VALU_DEP_1)
	v_cndmask_b32_e32 v2, v1, v3, vcc_lo
.LBB68_21:
	s_or_b32 exec_lo, exec_lo, s0
	s_delay_alu instid0(VALU_DEP_1) | instskip(NEXT) | instid1(VALU_DEP_1)
	v_mul_lo_u32 v1, v2, s2
	v_sub_nc_u32_e32 v0, v0, v1
	v_xor_b32_e32 v1, 0x80, v6
	s_delay_alu instid0(VALU_DEP_2) | instskip(NEXT) | instid1(VALU_DEP_1)
	v_xor_b32_e32 v0, v0, v2
	v_and_b32_e32 v0, 1, v0
	s_delay_alu instid0(VALU_DEP_1) | instskip(NEXT) | instid1(VALU_DEP_4)
	v_cmp_eq_u32_e32 vcc_lo, 0, v0
	v_cndmask_b32_e32 v2, v6, v1, vcc_lo
	v_add_co_u32 v0, vcc_lo, s4, v4
	v_add_co_ci_u32_e32 v1, vcc_lo, s5, v5, vcc_lo
	global_store_b8 v[0:1], v2, off
.LBB68_22:
	s_nop 0
	s_sendmsg sendmsg(MSG_DEALLOC_VGPRS)
	s_endpgm
	.section	.rodata,"a",@progbits
	.p2align	6, 0x0
	.amdhsa_kernel _Z11fill_kernelI12hipblaslt_f8Z21hipblaslt_init_deviceIS0_Ev8ABC_dims24hipblaslt_initializationbPT_mmmmmEUlmE1_EvS5_mmT0_
		.amdhsa_group_segment_fixed_size 0
		.amdhsa_private_segment_fixed_size 0
		.amdhsa_kernarg_size 296
		.amdhsa_user_sgpr_count 15
		.amdhsa_user_sgpr_dispatch_ptr 0
		.amdhsa_user_sgpr_queue_ptr 0
		.amdhsa_user_sgpr_kernarg_segment_ptr 1
		.amdhsa_user_sgpr_dispatch_id 0
		.amdhsa_user_sgpr_private_segment_size 0
		.amdhsa_wavefront_size32 1
		.amdhsa_uses_dynamic_stack 0
		.amdhsa_enable_private_segment 0
		.amdhsa_system_sgpr_workgroup_id_x 1
		.amdhsa_system_sgpr_workgroup_id_y 0
		.amdhsa_system_sgpr_workgroup_id_z 0
		.amdhsa_system_sgpr_workgroup_info 0
		.amdhsa_system_vgpr_workitem_id 0
		.amdhsa_next_free_vgpr 14
		.amdhsa_next_free_sgpr 16
		.amdhsa_reserve_vcc 1
		.amdhsa_float_round_mode_32 0
		.amdhsa_float_round_mode_16_64 0
		.amdhsa_float_denorm_mode_32 3
		.amdhsa_float_denorm_mode_16_64 3
		.amdhsa_dx10_clamp 1
		.amdhsa_ieee_mode 1
		.amdhsa_fp16_overflow 0
		.amdhsa_workgroup_processor_mode 1
		.amdhsa_memory_ordered 1
		.amdhsa_forward_progress 0
		.amdhsa_shared_vgpr_count 0
		.amdhsa_exception_fp_ieee_invalid_op 0
		.amdhsa_exception_fp_denorm_src 0
		.amdhsa_exception_fp_ieee_div_zero 0
		.amdhsa_exception_fp_ieee_overflow 0
		.amdhsa_exception_fp_ieee_underflow 0
		.amdhsa_exception_fp_ieee_inexact 0
		.amdhsa_exception_int_div_zero 0
	.end_amdhsa_kernel
	.section	.text._Z11fill_kernelI12hipblaslt_f8Z21hipblaslt_init_deviceIS0_Ev8ABC_dims24hipblaslt_initializationbPT_mmmmmEUlmE1_EvS5_mmT0_,"axG",@progbits,_Z11fill_kernelI12hipblaslt_f8Z21hipblaslt_init_deviceIS0_Ev8ABC_dims24hipblaslt_initializationbPT_mmmmmEUlmE1_EvS5_mmT0_,comdat
.Lfunc_end68:
	.size	_Z11fill_kernelI12hipblaslt_f8Z21hipblaslt_init_deviceIS0_Ev8ABC_dims24hipblaslt_initializationbPT_mmmmmEUlmE1_EvS5_mmT0_, .Lfunc_end68-_Z11fill_kernelI12hipblaslt_f8Z21hipblaslt_init_deviceIS0_Ev8ABC_dims24hipblaslt_initializationbPT_mmmmmEUlmE1_EvS5_mmT0_
                                        ; -- End function
	.section	.AMDGPU.csdata,"",@progbits
; Kernel info:
; codeLenInByte = 2720
; NumSgprs: 18
; NumVgprs: 14
; ScratchSize: 0
; MemoryBound: 0
; FloatMode: 240
; IeeeMode: 1
; LDSByteSize: 0 bytes/workgroup (compile time only)
; SGPRBlocks: 2
; VGPRBlocks: 1
; NumSGPRsForWavesPerEU: 18
; NumVGPRsForWavesPerEU: 14
; Occupancy: 16
; WaveLimiterHint : 0
; COMPUTE_PGM_RSRC2:SCRATCH_EN: 0
; COMPUTE_PGM_RSRC2:USER_SGPR: 15
; COMPUTE_PGM_RSRC2:TRAP_HANDLER: 0
; COMPUTE_PGM_RSRC2:TGID_X_EN: 1
; COMPUTE_PGM_RSRC2:TGID_Y_EN: 0
; COMPUTE_PGM_RSRC2:TGID_Z_EN: 0
; COMPUTE_PGM_RSRC2:TIDIG_COMP_CNT: 0
	.section	.text._Z11fill_kernelI12hipblaslt_f8Z21hipblaslt_init_deviceIS0_Ev8ABC_dims24hipblaslt_initializationbPT_mmmmmEUlmE2_EvS5_mmT0_,"axG",@progbits,_Z11fill_kernelI12hipblaslt_f8Z21hipblaslt_init_deviceIS0_Ev8ABC_dims24hipblaslt_initializationbPT_mmmmmEUlmE2_EvS5_mmT0_,comdat
	.protected	_Z11fill_kernelI12hipblaslt_f8Z21hipblaslt_init_deviceIS0_Ev8ABC_dims24hipblaslt_initializationbPT_mmmmmEUlmE2_EvS5_mmT0_ ; -- Begin function _Z11fill_kernelI12hipblaslt_f8Z21hipblaslt_init_deviceIS0_Ev8ABC_dims24hipblaslt_initializationbPT_mmmmmEUlmE2_EvS5_mmT0_
	.globl	_Z11fill_kernelI12hipblaslt_f8Z21hipblaslt_init_deviceIS0_Ev8ABC_dims24hipblaslt_initializationbPT_mmmmmEUlmE2_EvS5_mmT0_
	.p2align	8
	.type	_Z11fill_kernelI12hipblaslt_f8Z21hipblaslt_init_deviceIS0_Ev8ABC_dims24hipblaslt_initializationbPT_mmmmmEUlmE2_EvS5_mmT0_,@function
_Z11fill_kernelI12hipblaslt_f8Z21hipblaslt_init_deviceIS0_Ev8ABC_dims24hipblaslt_initializationbPT_mmmmmEUlmE2_EvS5_mmT0_: ; @_Z11fill_kernelI12hipblaslt_f8Z21hipblaslt_init_deviceIS0_Ev8ABC_dims24hipblaslt_initializationbPT_mmmmmEUlmE2_EvS5_mmT0_
; %bb.0:
	s_clause 0x1
	s_load_b32 s2, s[0:1], 0x44
	s_load_b128 s[16:19], s[0:1], 0x0
	s_waitcnt lgkmcnt(0)
	s_and_b32 s2, s2, 0xffff
	s_delay_alu instid0(SALU_CYCLE_1) | instskip(SKIP_2) | instid1(VALU_DEP_1)
	v_mad_u64_u32 v[1:2], null, s15, s2, v[0:1]
	v_mov_b32_e32 v2, 0
	s_mov_b32 s2, exec_lo
	v_cmpx_gt_u64_e64 s[18:19], v[1:2]
	s_cbranch_execz .LBB69_30
; %bb.1:
	s_clause 0x1
	s_load_b64 s[2:3], s[0:1], 0x10
	s_load_b256 s[4:11], s[0:1], 0x18
	v_mov_b32_e32 v0, v2
	s_waitcnt lgkmcnt(0)
	v_add_co_u32 v6, s0, v1, s2
	s_delay_alu instid0(VALU_DEP_1) | instskip(NEXT) | instid1(VALU_DEP_1)
	v_add_co_ci_u32_e64 v7, null, 0, s3, s0
	v_or_b32_e32 v1, s9, v7
	s_delay_alu instid0(VALU_DEP_1) | instskip(SKIP_1) | instid1(SALU_CYCLE_1)
	v_cmp_ne_u64_e32 vcc_lo, 0, v[0:1]
                                        ; implicit-def: $vgpr0_vgpr1
	s_and_saveexec_b32 s0, vcc_lo
	s_xor_b32 s1, exec_lo, s0
	s_cbranch_execz .LBB69_3
; %bb.2:
	v_cvt_f32_u32_e32 v0, s8
	v_cvt_f32_u32_e32 v1, s9
	s_sub_u32 s0, 0, s8
	s_subb_u32 s2, 0, s9
	s_delay_alu instid0(VALU_DEP_1) | instskip(NEXT) | instid1(VALU_DEP_1)
	v_fmamk_f32 v0, v1, 0x4f800000, v0
	v_rcp_f32_e32 v0, v0
	s_waitcnt_depctr 0xfff
	v_mul_f32_e32 v0, 0x5f7ffffc, v0
	s_delay_alu instid0(VALU_DEP_1) | instskip(NEXT) | instid1(VALU_DEP_1)
	v_mul_f32_e32 v1, 0x2f800000, v0
	v_trunc_f32_e32 v1, v1
	s_delay_alu instid0(VALU_DEP_1) | instskip(SKIP_1) | instid1(VALU_DEP_2)
	v_fmamk_f32 v0, v1, 0xcf800000, v0
	v_cvt_u32_f32_e32 v1, v1
	v_cvt_u32_f32_e32 v0, v0
	s_delay_alu instid0(VALU_DEP_2) | instskip(NEXT) | instid1(VALU_DEP_2)
	v_mul_lo_u32 v2, s0, v1
	v_mul_hi_u32 v3, s0, v0
	v_mul_lo_u32 v4, s2, v0
	s_delay_alu instid0(VALU_DEP_2) | instskip(SKIP_1) | instid1(VALU_DEP_2)
	v_add_nc_u32_e32 v2, v3, v2
	v_mul_lo_u32 v3, s0, v0
	v_add_nc_u32_e32 v2, v2, v4
	s_delay_alu instid0(VALU_DEP_2) | instskip(NEXT) | instid1(VALU_DEP_2)
	v_mul_hi_u32 v4, v0, v3
	v_mul_lo_u32 v5, v0, v2
	v_mul_hi_u32 v8, v0, v2
	v_mul_hi_u32 v9, v1, v3
	v_mul_lo_u32 v3, v1, v3
	v_mul_hi_u32 v10, v1, v2
	v_mul_lo_u32 v2, v1, v2
	v_add_co_u32 v4, vcc_lo, v4, v5
	v_add_co_ci_u32_e32 v5, vcc_lo, 0, v8, vcc_lo
	s_delay_alu instid0(VALU_DEP_2) | instskip(NEXT) | instid1(VALU_DEP_2)
	v_add_co_u32 v3, vcc_lo, v4, v3
	v_add_co_ci_u32_e32 v3, vcc_lo, v5, v9, vcc_lo
	v_add_co_ci_u32_e32 v4, vcc_lo, 0, v10, vcc_lo
	s_delay_alu instid0(VALU_DEP_2) | instskip(NEXT) | instid1(VALU_DEP_2)
	v_add_co_u32 v2, vcc_lo, v3, v2
	v_add_co_ci_u32_e32 v3, vcc_lo, 0, v4, vcc_lo
	s_delay_alu instid0(VALU_DEP_2) | instskip(NEXT) | instid1(VALU_DEP_2)
	v_add_co_u32 v0, vcc_lo, v0, v2
	v_add_co_ci_u32_e32 v1, vcc_lo, v1, v3, vcc_lo
	s_delay_alu instid0(VALU_DEP_2) | instskip(SKIP_1) | instid1(VALU_DEP_3)
	v_mul_hi_u32 v2, s0, v0
	v_mul_lo_u32 v4, s2, v0
	v_mul_lo_u32 v3, s0, v1
	s_delay_alu instid0(VALU_DEP_1) | instskip(SKIP_1) | instid1(VALU_DEP_2)
	v_add_nc_u32_e32 v2, v2, v3
	v_mul_lo_u32 v3, s0, v0
	v_add_nc_u32_e32 v2, v2, v4
	s_delay_alu instid0(VALU_DEP_2) | instskip(NEXT) | instid1(VALU_DEP_2)
	v_mul_hi_u32 v4, v0, v3
	v_mul_lo_u32 v5, v0, v2
	v_mul_hi_u32 v8, v0, v2
	v_mul_hi_u32 v9, v1, v3
	v_mul_lo_u32 v3, v1, v3
	v_mul_hi_u32 v10, v1, v2
	v_mul_lo_u32 v2, v1, v2
	v_add_co_u32 v4, vcc_lo, v4, v5
	v_add_co_ci_u32_e32 v5, vcc_lo, 0, v8, vcc_lo
	s_delay_alu instid0(VALU_DEP_2) | instskip(NEXT) | instid1(VALU_DEP_2)
	v_add_co_u32 v3, vcc_lo, v4, v3
	v_add_co_ci_u32_e32 v3, vcc_lo, v5, v9, vcc_lo
	v_add_co_ci_u32_e32 v4, vcc_lo, 0, v10, vcc_lo
	s_delay_alu instid0(VALU_DEP_2) | instskip(NEXT) | instid1(VALU_DEP_2)
	v_add_co_u32 v2, vcc_lo, v3, v2
	v_add_co_ci_u32_e32 v3, vcc_lo, 0, v4, vcc_lo
	s_delay_alu instid0(VALU_DEP_2) | instskip(NEXT) | instid1(VALU_DEP_2)
	v_add_co_u32 v4, vcc_lo, v0, v2
	v_add_co_ci_u32_e32 v8, vcc_lo, v1, v3, vcc_lo
	s_delay_alu instid0(VALU_DEP_2) | instskip(SKIP_1) | instid1(VALU_DEP_3)
	v_mul_hi_u32 v9, v6, v4
	v_mad_u64_u32 v[2:3], null, v7, v4, 0
	v_mad_u64_u32 v[0:1], null, v6, v8, 0
	;; [unrolled: 1-line block ×3, first 2 shown]
	s_delay_alu instid0(VALU_DEP_2) | instskip(NEXT) | instid1(VALU_DEP_3)
	v_add_co_u32 v0, vcc_lo, v9, v0
	v_add_co_ci_u32_e32 v1, vcc_lo, 0, v1, vcc_lo
	s_delay_alu instid0(VALU_DEP_2) | instskip(NEXT) | instid1(VALU_DEP_2)
	v_add_co_u32 v0, vcc_lo, v0, v2
	v_add_co_ci_u32_e32 v0, vcc_lo, v1, v3, vcc_lo
	v_add_co_ci_u32_e32 v1, vcc_lo, 0, v5, vcc_lo
	s_delay_alu instid0(VALU_DEP_2) | instskip(NEXT) | instid1(VALU_DEP_2)
	v_add_co_u32 v2, vcc_lo, v0, v4
	v_add_co_ci_u32_e32 v3, vcc_lo, 0, v1, vcc_lo
	s_delay_alu instid0(VALU_DEP_2) | instskip(SKIP_1) | instid1(VALU_DEP_3)
	v_mul_lo_u32 v4, s9, v2
	v_mad_u64_u32 v[0:1], null, s8, v2, 0
	v_mul_lo_u32 v5, s8, v3
	s_delay_alu instid0(VALU_DEP_2) | instskip(NEXT) | instid1(VALU_DEP_2)
	v_sub_co_u32 v0, vcc_lo, v6, v0
	v_add3_u32 v1, v1, v5, v4
	s_delay_alu instid0(VALU_DEP_1) | instskip(NEXT) | instid1(VALU_DEP_1)
	v_sub_nc_u32_e32 v4, v7, v1
	v_subrev_co_ci_u32_e64 v4, s0, s9, v4, vcc_lo
	v_add_co_u32 v5, s0, v2, 2
	s_delay_alu instid0(VALU_DEP_1) | instskip(SKIP_3) | instid1(VALU_DEP_3)
	v_add_co_ci_u32_e64 v8, s0, 0, v3, s0
	v_sub_co_u32 v9, s0, v0, s8
	v_sub_co_ci_u32_e32 v1, vcc_lo, v7, v1, vcc_lo
	v_subrev_co_ci_u32_e64 v4, s0, 0, v4, s0
	v_cmp_le_u32_e32 vcc_lo, s8, v9
	s_delay_alu instid0(VALU_DEP_3) | instskip(SKIP_1) | instid1(VALU_DEP_4)
	v_cmp_eq_u32_e64 s0, s9, v1
	v_cndmask_b32_e64 v9, 0, -1, vcc_lo
	v_cmp_le_u32_e32 vcc_lo, s9, v4
	v_cndmask_b32_e64 v10, 0, -1, vcc_lo
	v_cmp_le_u32_e32 vcc_lo, s8, v0
	;; [unrolled: 2-line block ×3, first 2 shown]
	v_cndmask_b32_e64 v11, 0, -1, vcc_lo
	v_cmp_eq_u32_e32 vcc_lo, s9, v4
	s_delay_alu instid0(VALU_DEP_2) | instskip(SKIP_3) | instid1(VALU_DEP_3)
	v_cndmask_b32_e64 v0, v11, v0, s0
	v_cndmask_b32_e32 v4, v10, v9, vcc_lo
	v_add_co_u32 v9, vcc_lo, v2, 1
	v_add_co_ci_u32_e32 v10, vcc_lo, 0, v3, vcc_lo
	v_cmp_ne_u32_e32 vcc_lo, 0, v4
	s_delay_alu instid0(VALU_DEP_2) | instskip(SKIP_1) | instid1(VALU_DEP_2)
	v_dual_cndmask_b32 v1, v10, v8 :: v_dual_cndmask_b32 v4, v9, v5
	v_cmp_ne_u32_e32 vcc_lo, 0, v0
	v_dual_cndmask_b32 v1, v3, v1 :: v_dual_cndmask_b32 v0, v2, v4
.LBB69_3:
	s_and_not1_saveexec_b32 s0, s1
	s_cbranch_execz .LBB69_5
; %bb.4:
	v_cvt_f32_u32_e32 v0, s8
	s_sub_i32 s1, 0, s8
	s_delay_alu instid0(VALU_DEP_1) | instskip(SKIP_2) | instid1(VALU_DEP_1)
	v_rcp_iflag_f32_e32 v0, v0
	s_waitcnt_depctr 0xfff
	v_mul_f32_e32 v0, 0x4f7ffffe, v0
	v_cvt_u32_f32_e32 v0, v0
	s_delay_alu instid0(VALU_DEP_1) | instskip(NEXT) | instid1(VALU_DEP_1)
	v_mul_lo_u32 v1, s1, v0
	v_mul_hi_u32 v1, v0, v1
	s_delay_alu instid0(VALU_DEP_1) | instskip(NEXT) | instid1(VALU_DEP_1)
	v_add_nc_u32_e32 v0, v0, v1
	v_mul_hi_u32 v0, v6, v0
	s_delay_alu instid0(VALU_DEP_1) | instskip(SKIP_1) | instid1(VALU_DEP_2)
	v_mul_lo_u32 v1, v0, s8
	v_add_nc_u32_e32 v2, 1, v0
	v_sub_nc_u32_e32 v1, v6, v1
	s_delay_alu instid0(VALU_DEP_1) | instskip(SKIP_1) | instid1(VALU_DEP_2)
	v_subrev_nc_u32_e32 v3, s8, v1
	v_cmp_le_u32_e32 vcc_lo, s8, v1
	v_dual_cndmask_b32 v1, v1, v3 :: v_dual_cndmask_b32 v0, v0, v2
	s_delay_alu instid0(VALU_DEP_1) | instskip(NEXT) | instid1(VALU_DEP_2)
	v_cmp_le_u32_e32 vcc_lo, s8, v1
	v_dual_mov_b32 v1, 0 :: v_dual_add_nc_u32 v2, 1, v0
	s_delay_alu instid0(VALU_DEP_1)
	v_cndmask_b32_e32 v0, v0, v2, vcc_lo
.LBB69_5:
	s_or_b32 exec_lo, exec_lo, s0
	s_delay_alu instid0(VALU_DEP_1) | instskip(NEXT) | instid1(VALU_DEP_2)
	v_mul_lo_u32 v4, v1, s8
	v_mul_lo_u32 v5, v0, s9
	v_mad_u64_u32 v[2:3], null, v0, s8, 0
	s_delay_alu instid0(VALU_DEP_1) | instskip(NEXT) | instid1(VALU_DEP_2)
	v_add3_u32 v3, v3, v5, v4
	v_sub_co_u32 v4, vcc_lo, v6, v2
	v_mov_b32_e32 v2, 0
	s_delay_alu instid0(VALU_DEP_3) | instskip(NEXT) | instid1(VALU_DEP_1)
	v_sub_co_ci_u32_e32 v5, vcc_lo, v7, v3, vcc_lo
	v_or_b32_e32 v3, s11, v5
	s_delay_alu instid0(VALU_DEP_1) | instskip(SKIP_1) | instid1(SALU_CYCLE_1)
	v_cmp_ne_u64_e32 vcc_lo, 0, v[2:3]
                                        ; implicit-def: $vgpr2_vgpr3
	s_and_saveexec_b32 s0, vcc_lo
	s_xor_b32 s1, exec_lo, s0
	s_cbranch_execz .LBB69_7
; %bb.6:
	v_cvt_f32_u32_e32 v2, s10
	v_cvt_f32_u32_e32 v3, s11
	s_sub_u32 s0, 0, s10
	s_subb_u32 s2, 0, s11
	s_delay_alu instid0(VALU_DEP_1) | instskip(NEXT) | instid1(VALU_DEP_1)
	v_fmamk_f32 v2, v3, 0x4f800000, v2
	v_rcp_f32_e32 v2, v2
	s_waitcnt_depctr 0xfff
	v_mul_f32_e32 v2, 0x5f7ffffc, v2
	s_delay_alu instid0(VALU_DEP_1) | instskip(NEXT) | instid1(VALU_DEP_1)
	v_mul_f32_e32 v3, 0x2f800000, v2
	v_trunc_f32_e32 v3, v3
	s_delay_alu instid0(VALU_DEP_1) | instskip(SKIP_1) | instid1(VALU_DEP_2)
	v_fmamk_f32 v2, v3, 0xcf800000, v2
	v_cvt_u32_f32_e32 v3, v3
	v_cvt_u32_f32_e32 v2, v2
	s_delay_alu instid0(VALU_DEP_2) | instskip(NEXT) | instid1(VALU_DEP_2)
	v_mul_lo_u32 v8, s0, v3
	v_mul_hi_u32 v9, s0, v2
	v_mul_lo_u32 v10, s2, v2
	s_delay_alu instid0(VALU_DEP_2) | instskip(SKIP_1) | instid1(VALU_DEP_2)
	v_add_nc_u32_e32 v8, v9, v8
	v_mul_lo_u32 v9, s0, v2
	v_add_nc_u32_e32 v8, v8, v10
	s_delay_alu instid0(VALU_DEP_2) | instskip(NEXT) | instid1(VALU_DEP_2)
	v_mul_hi_u32 v10, v2, v9
	v_mul_lo_u32 v11, v2, v8
	v_mul_hi_u32 v12, v2, v8
	v_mul_hi_u32 v13, v3, v9
	v_mul_lo_u32 v9, v3, v9
	v_mul_hi_u32 v14, v3, v8
	v_mul_lo_u32 v8, v3, v8
	v_add_co_u32 v10, vcc_lo, v10, v11
	v_add_co_ci_u32_e32 v11, vcc_lo, 0, v12, vcc_lo
	s_delay_alu instid0(VALU_DEP_2) | instskip(NEXT) | instid1(VALU_DEP_2)
	v_add_co_u32 v9, vcc_lo, v10, v9
	v_add_co_ci_u32_e32 v9, vcc_lo, v11, v13, vcc_lo
	v_add_co_ci_u32_e32 v10, vcc_lo, 0, v14, vcc_lo
	s_delay_alu instid0(VALU_DEP_2) | instskip(NEXT) | instid1(VALU_DEP_2)
	v_add_co_u32 v8, vcc_lo, v9, v8
	v_add_co_ci_u32_e32 v9, vcc_lo, 0, v10, vcc_lo
	s_delay_alu instid0(VALU_DEP_2) | instskip(NEXT) | instid1(VALU_DEP_2)
	v_add_co_u32 v2, vcc_lo, v2, v8
	v_add_co_ci_u32_e32 v3, vcc_lo, v3, v9, vcc_lo
	s_delay_alu instid0(VALU_DEP_2) | instskip(SKIP_1) | instid1(VALU_DEP_3)
	v_mul_hi_u32 v8, s0, v2
	v_mul_lo_u32 v10, s2, v2
	v_mul_lo_u32 v9, s0, v3
	s_delay_alu instid0(VALU_DEP_1) | instskip(SKIP_1) | instid1(VALU_DEP_2)
	v_add_nc_u32_e32 v8, v8, v9
	v_mul_lo_u32 v9, s0, v2
	v_add_nc_u32_e32 v8, v8, v10
	s_delay_alu instid0(VALU_DEP_2) | instskip(NEXT) | instid1(VALU_DEP_2)
	v_mul_hi_u32 v10, v2, v9
	v_mul_lo_u32 v11, v2, v8
	v_mul_hi_u32 v12, v2, v8
	v_mul_hi_u32 v13, v3, v9
	v_mul_lo_u32 v9, v3, v9
	v_mul_hi_u32 v14, v3, v8
	v_mul_lo_u32 v8, v3, v8
	v_add_co_u32 v10, vcc_lo, v10, v11
	v_add_co_ci_u32_e32 v11, vcc_lo, 0, v12, vcc_lo
	s_delay_alu instid0(VALU_DEP_2) | instskip(NEXT) | instid1(VALU_DEP_2)
	v_add_co_u32 v9, vcc_lo, v10, v9
	v_add_co_ci_u32_e32 v9, vcc_lo, v11, v13, vcc_lo
	v_add_co_ci_u32_e32 v10, vcc_lo, 0, v14, vcc_lo
	s_delay_alu instid0(VALU_DEP_2) | instskip(NEXT) | instid1(VALU_DEP_2)
	v_add_co_u32 v8, vcc_lo, v9, v8
	v_add_co_ci_u32_e32 v9, vcc_lo, 0, v10, vcc_lo
	s_delay_alu instid0(VALU_DEP_2) | instskip(NEXT) | instid1(VALU_DEP_2)
	v_add_co_u32 v10, vcc_lo, v2, v8
	v_add_co_ci_u32_e32 v12, vcc_lo, v3, v9, vcc_lo
	s_delay_alu instid0(VALU_DEP_2) | instskip(SKIP_1) | instid1(VALU_DEP_3)
	v_mul_hi_u32 v13, v4, v10
	v_mad_u64_u32 v[8:9], null, v5, v10, 0
	v_mad_u64_u32 v[2:3], null, v4, v12, 0
	;; [unrolled: 1-line block ×3, first 2 shown]
	s_delay_alu instid0(VALU_DEP_2) | instskip(NEXT) | instid1(VALU_DEP_3)
	v_add_co_u32 v2, vcc_lo, v13, v2
	v_add_co_ci_u32_e32 v3, vcc_lo, 0, v3, vcc_lo
	s_delay_alu instid0(VALU_DEP_2) | instskip(NEXT) | instid1(VALU_DEP_2)
	v_add_co_u32 v2, vcc_lo, v2, v8
	v_add_co_ci_u32_e32 v2, vcc_lo, v3, v9, vcc_lo
	v_add_co_ci_u32_e32 v3, vcc_lo, 0, v11, vcc_lo
	s_delay_alu instid0(VALU_DEP_2) | instskip(NEXT) | instid1(VALU_DEP_2)
	v_add_co_u32 v8, vcc_lo, v2, v10
	v_add_co_ci_u32_e32 v9, vcc_lo, 0, v3, vcc_lo
	s_delay_alu instid0(VALU_DEP_2) | instskip(SKIP_1) | instid1(VALU_DEP_3)
	v_mul_lo_u32 v10, s11, v8
	v_mad_u64_u32 v[2:3], null, s10, v8, 0
	v_mul_lo_u32 v11, s10, v9
	s_delay_alu instid0(VALU_DEP_2) | instskip(NEXT) | instid1(VALU_DEP_2)
	v_sub_co_u32 v2, vcc_lo, v4, v2
	v_add3_u32 v3, v3, v11, v10
	s_delay_alu instid0(VALU_DEP_1) | instskip(NEXT) | instid1(VALU_DEP_1)
	v_sub_nc_u32_e32 v10, v5, v3
	v_subrev_co_ci_u32_e64 v10, s0, s11, v10, vcc_lo
	v_add_co_u32 v11, s0, v8, 2
	s_delay_alu instid0(VALU_DEP_1) | instskip(SKIP_3) | instid1(VALU_DEP_3)
	v_add_co_ci_u32_e64 v12, s0, 0, v9, s0
	v_sub_co_u32 v13, s0, v2, s10
	v_sub_co_ci_u32_e32 v3, vcc_lo, v5, v3, vcc_lo
	v_subrev_co_ci_u32_e64 v10, s0, 0, v10, s0
	v_cmp_le_u32_e32 vcc_lo, s10, v13
	s_delay_alu instid0(VALU_DEP_3) | instskip(SKIP_1) | instid1(VALU_DEP_4)
	v_cmp_eq_u32_e64 s0, s11, v3
	v_cndmask_b32_e64 v13, 0, -1, vcc_lo
	v_cmp_le_u32_e32 vcc_lo, s11, v10
	v_cndmask_b32_e64 v14, 0, -1, vcc_lo
	v_cmp_le_u32_e32 vcc_lo, s10, v2
	;; [unrolled: 2-line block ×3, first 2 shown]
	v_cndmask_b32_e64 v15, 0, -1, vcc_lo
	v_cmp_eq_u32_e32 vcc_lo, s11, v10
	s_delay_alu instid0(VALU_DEP_2) | instskip(SKIP_3) | instid1(VALU_DEP_3)
	v_cndmask_b32_e64 v2, v15, v2, s0
	v_cndmask_b32_e32 v10, v14, v13, vcc_lo
	v_add_co_u32 v13, vcc_lo, v8, 1
	v_add_co_ci_u32_e32 v14, vcc_lo, 0, v9, vcc_lo
	v_cmp_ne_u32_e32 vcc_lo, 0, v10
	s_delay_alu instid0(VALU_DEP_2) | instskip(SKIP_1) | instid1(VALU_DEP_2)
	v_dual_cndmask_b32 v3, v14, v12 :: v_dual_cndmask_b32 v10, v13, v11
	v_cmp_ne_u32_e32 vcc_lo, 0, v2
	v_dual_cndmask_b32 v3, v9, v3 :: v_dual_cndmask_b32 v2, v8, v10
.LBB69_7:
	s_and_not1_saveexec_b32 s0, s1
	s_cbranch_execz .LBB69_9
; %bb.8:
	v_cvt_f32_u32_e32 v2, s10
	s_sub_i32 s1, 0, s10
	s_delay_alu instid0(VALU_DEP_1) | instskip(SKIP_2) | instid1(VALU_DEP_1)
	v_rcp_iflag_f32_e32 v2, v2
	s_waitcnt_depctr 0xfff
	v_mul_f32_e32 v2, 0x4f7ffffe, v2
	v_cvt_u32_f32_e32 v2, v2
	s_delay_alu instid0(VALU_DEP_1) | instskip(NEXT) | instid1(VALU_DEP_1)
	v_mul_lo_u32 v3, s1, v2
	v_mul_hi_u32 v3, v2, v3
	s_delay_alu instid0(VALU_DEP_1) | instskip(NEXT) | instid1(VALU_DEP_1)
	v_add_nc_u32_e32 v2, v2, v3
	v_mul_hi_u32 v2, v4, v2
	s_delay_alu instid0(VALU_DEP_1) | instskip(SKIP_1) | instid1(VALU_DEP_2)
	v_mul_lo_u32 v3, v2, s10
	v_add_nc_u32_e32 v8, 1, v2
	v_sub_nc_u32_e32 v3, v4, v3
	s_delay_alu instid0(VALU_DEP_1) | instskip(SKIP_1) | instid1(VALU_DEP_2)
	v_subrev_nc_u32_e32 v9, s10, v3
	v_cmp_le_u32_e32 vcc_lo, s10, v3
	v_dual_cndmask_b32 v3, v3, v9 :: v_dual_cndmask_b32 v2, v2, v8
	s_delay_alu instid0(VALU_DEP_1) | instskip(NEXT) | instid1(VALU_DEP_2)
	v_cmp_le_u32_e32 vcc_lo, s10, v3
	v_dual_mov_b32 v3, 0 :: v_dual_add_nc_u32 v8, 1, v2
	s_delay_alu instid0(VALU_DEP_1)
	v_cndmask_b32_e32 v2, v2, v8, vcc_lo
.LBB69_9:
	s_or_b32 exec_lo, exec_lo, s0
	s_delay_alu instid0(VALU_DEP_1) | instskip(NEXT) | instid1(VALU_DEP_2)
	v_mul_lo_u32 v12, v3, s10
	v_mul_lo_u32 v13, v2, s11
	v_mad_u64_u32 v[8:9], null, v2, s10, 0
	v_mad_u64_u32 v[10:11], null, v0, s6, v[2:3]
	v_mul_lo_u32 v0, v0, s7
	v_mul_lo_u32 v1, v1, s6
	s_delay_alu instid0(VALU_DEP_4) | instskip(NEXT) | instid1(VALU_DEP_2)
	v_add3_u32 v2, v9, v13, v12
	v_add3_u32 v3, v1, v11, v0
	v_sub_co_u32 v0, vcc_lo, v4, v8
	s_delay_alu instid0(VALU_DEP_3) | instskip(SKIP_1) | instid1(VALU_DEP_4)
	v_sub_co_ci_u32_e32 v1, vcc_lo, v5, v2, vcc_lo
	v_mul_lo_u32 v4, v10, s5
	v_mul_lo_u32 v5, v3, s4
                                        ; implicit-def: $vgpr8
	s_delay_alu instid0(VALU_DEP_3) | instskip(NEXT) | instid1(VALU_DEP_1)
	v_mad_u64_u32 v[2:3], null, v10, s4, v[0:1]
	v_add3_u32 v3, v5, v3, v4
	s_delay_alu instid0(VALU_DEP_2) | instskip(NEXT) | instid1(VALU_DEP_2)
	v_cvt_f64_u32_e32 v[4:5], v2
	v_cvt_f64_u32_e32 v[0:1], v3
	v_cmp_lt_u64_e32 vcc_lo, 0x3fffffff, v[2:3]
                                        ; implicit-def: $vgpr2_vgpr3
	s_delay_alu instid0(VALU_DEP_2) | instskip(NEXT) | instid1(VALU_DEP_1)
	v_ldexp_f64 v[0:1], v[0:1], 32
	v_add_f64 v[0:1], v[0:1], v[4:5]
                                        ; implicit-def: $vgpr4_vgpr5
	s_and_saveexec_b32 s0, vcc_lo
	s_delay_alu instid0(SALU_CYCLE_1)
	s_xor_b32 s1, exec_lo, s0
	s_cbranch_execz .LBB69_11
; %bb.10:
	s_delay_alu instid0(VALU_DEP_1)
	v_trig_preop_f64 v[2:3], v[0:1], 0
	v_trig_preop_f64 v[4:5], v[0:1], 1
	;; [unrolled: 1-line block ×3, first 2 shown]
	v_mov_b32_e32 v24, 0
	s_mov_b32 s2, 0x54442d18
	s_mov_b32 s3, 0x3ff921fb
	;; [unrolled: 1-line block ×4, first 2 shown]
	s_delay_alu instid0(VALU_DEP_4) | instskip(NEXT) | instid1(VALU_DEP_4)
	v_mul_f64 v[8:9], v[2:3], v[0:1]
	v_mul_f64 v[10:11], v[4:5], v[0:1]
	s_delay_alu instid0(VALU_DEP_4) | instskip(NEXT) | instid1(VALU_DEP_3)
	v_mul_f64 v[22:23], v[16:17], v[0:1]
	v_fma_f64 v[2:3], v[2:3], v[0:1], -v[8:9]
	s_delay_alu instid0(VALU_DEP_3) | instskip(NEXT) | instid1(VALU_DEP_3)
	v_fma_f64 v[4:5], v[4:5], v[0:1], -v[10:11]
	v_fma_f64 v[16:17], v[16:17], v[0:1], -v[22:23]
	s_delay_alu instid0(VALU_DEP_3) | instskip(NEXT) | instid1(VALU_DEP_1)
	v_add_f64 v[12:13], v[10:11], v[2:3]
	v_add_f64 v[14:15], v[12:13], -v[10:11]
	v_add_f64 v[20:21], v[8:9], v[12:13]
	s_delay_alu instid0(VALU_DEP_2) | instskip(SKIP_1) | instid1(VALU_DEP_3)
	v_add_f64 v[18:19], v[12:13], -v[14:15]
	v_add_f64 v[2:3], v[2:3], -v[14:15]
	v_ldexp_f64 v[14:15], v[20:21], -2
	v_add_f64 v[8:9], v[20:21], -v[8:9]
	s_delay_alu instid0(VALU_DEP_4) | instskip(SKIP_1) | instid1(VALU_DEP_4)
	v_add_f64 v[10:11], v[10:11], -v[18:19]
	v_add_f64 v[18:19], v[22:23], v[4:5]
	v_cmp_neq_f64_e64 vcc_lo, 0x7ff00000, |v[14:15]|
	s_delay_alu instid0(VALU_DEP_4) | instskip(NEXT) | instid1(VALU_DEP_4)
	v_add_f64 v[8:9], v[12:13], -v[8:9]
	v_add_f64 v[2:3], v[2:3], v[10:11]
	v_fract_f64_e32 v[10:11], v[14:15]
	s_delay_alu instid0(VALU_DEP_2) | instskip(NEXT) | instid1(VALU_DEP_2)
	v_add_f64 v[12:13], v[18:19], v[2:3]
	v_dual_cndmask_b32 v11, 0, v11 :: v_dual_cndmask_b32 v10, 0, v10
	s_delay_alu instid0(VALU_DEP_1) | instskip(NEXT) | instid1(VALU_DEP_3)
	v_ldexp_f64 v[10:11], v[10:11], 2
	v_add_f64 v[14:15], v[8:9], v[12:13]
	s_delay_alu instid0(VALU_DEP_1) | instskip(SKIP_1) | instid1(VALU_DEP_2)
	v_add_f64 v[20:21], v[14:15], v[10:11]
	v_add_f64 v[8:9], v[14:15], -v[8:9]
	v_cmp_gt_f64_e32 vcc_lo, 0, v[20:21]
	v_add_f64 v[20:21], v[18:19], -v[22:23]
	s_delay_alu instid0(VALU_DEP_3) | instskip(SKIP_1) | instid1(VALU_DEP_3)
	v_add_f64 v[8:9], v[12:13], -v[8:9]
	v_cndmask_b32_e64 v25, 0, 0x40100000, vcc_lo
	v_add_f64 v[29:30], v[18:19], -v[20:21]
	v_add_f64 v[4:5], v[4:5], -v[20:21]
	s_delay_alu instid0(VALU_DEP_3) | instskip(SKIP_1) | instid1(VALU_DEP_4)
	v_add_f64 v[10:11], v[10:11], v[24:25]
	v_add_f64 v[25:26], v[12:13], -v[18:19]
	v_add_f64 v[20:21], v[22:23], -v[29:30]
	s_delay_alu instid0(VALU_DEP_3) | instskip(NEXT) | instid1(VALU_DEP_3)
	v_add_f64 v[27:28], v[14:15], v[10:11]
	v_add_f64 v[31:32], v[12:13], -v[25:26]
	v_add_f64 v[2:3], v[2:3], -v[25:26]
	s_delay_alu instid0(VALU_DEP_4) | instskip(NEXT) | instid1(VALU_DEP_4)
	v_add_f64 v[4:5], v[4:5], v[20:21]
	v_cvt_i32_f64_e32 v27, v[27:28]
	s_delay_alu instid0(VALU_DEP_4) | instskip(NEXT) | instid1(VALU_DEP_2)
	v_add_f64 v[18:19], v[18:19], -v[31:32]
	v_cvt_f64_i32_e32 v[25:26], v27
	s_delay_alu instid0(VALU_DEP_2) | instskip(NEXT) | instid1(VALU_DEP_2)
	v_add_f64 v[2:3], v[2:3], v[18:19]
	v_add_f64 v[10:11], v[10:11], -v[25:26]
	s_delay_alu instid0(VALU_DEP_2) | instskip(NEXT) | instid1(VALU_DEP_2)
	v_add_f64 v[2:3], v[4:5], v[2:3]
	v_add_f64 v[4:5], v[14:15], v[10:11]
	s_delay_alu instid0(VALU_DEP_2) | instskip(NEXT) | instid1(VALU_DEP_2)
	v_add_f64 v[2:3], v[16:17], v[2:3]
	v_add_f64 v[10:11], v[4:5], -v[10:11]
	v_cmp_le_f64_e32 vcc_lo, 0.5, v[4:5]
	s_delay_alu instid0(VALU_DEP_3) | instskip(NEXT) | instid1(VALU_DEP_3)
	v_add_f64 v[2:3], v[8:9], v[2:3]
	v_add_f64 v[9:10], v[14:15], -v[10:11]
	v_cndmask_b32_e64 v25, 0, 0x3ff00000, vcc_lo
	v_add_co_ci_u32_e64 v8, s0, 0, v27, vcc_lo
	s_delay_alu instid0(VALU_DEP_2) | instskip(NEXT) | instid1(VALU_DEP_4)
	v_add_f64 v[4:5], v[4:5], -v[24:25]
	v_add_f64 v[2:3], v[2:3], v[9:10]
	s_delay_alu instid0(VALU_DEP_1) | instskip(NEXT) | instid1(VALU_DEP_1)
	v_add_f64 v[9:10], v[4:5], v[2:3]
	v_mul_f64 v[11:12], v[9:10], s[2:3]
	v_add_f64 v[4:5], v[9:10], -v[4:5]
	s_delay_alu instid0(VALU_DEP_2) | instskip(NEXT) | instid1(VALU_DEP_2)
	v_fma_f64 v[13:14], v[9:10], s[2:3], -v[11:12]
	v_add_f64 v[2:3], v[2:3], -v[4:5]
	s_delay_alu instid0(VALU_DEP_2) | instskip(NEXT) | instid1(VALU_DEP_1)
	v_fma_f64 v[4:5], v[9:10], s[4:5], v[13:14]
	v_fma_f64 v[4:5], v[2:3], s[2:3], v[4:5]
	s_delay_alu instid0(VALU_DEP_1) | instskip(NEXT) | instid1(VALU_DEP_1)
	v_add_f64 v[2:3], v[11:12], v[4:5]
	v_add_f64 v[9:10], v[2:3], -v[11:12]
	s_delay_alu instid0(VALU_DEP_1)
	v_add_f64 v[4:5], v[4:5], -v[9:10]
.LBB69_11:
	s_and_not1_saveexec_b32 s0, s1
	s_cbranch_execz .LBB69_13
; %bb.12:
	s_mov_b32 s2, 0x6dc9c883
	s_mov_b32 s3, 0x3fe45f30
	;; [unrolled: 1-line block ×3, first 2 shown]
	s_delay_alu instid0(VALU_DEP_1) | instskip(SKIP_3) | instid1(VALU_DEP_1)
	v_mul_f64 v[2:3], v[0:1], s[2:3]
	s_mov_b32 s2, 0x54442d18
	s_mov_b32 s3, 0xbff921fb
	;; [unrolled: 1-line block ×3, first 2 shown]
	v_rndne_f64_e32 v[8:9], v[2:3]
	s_delay_alu instid0(VALU_DEP_1) | instskip(SKIP_3) | instid1(VALU_DEP_2)
	v_fma_f64 v[2:3], v[8:9], s[2:3], v[0:1]
	v_mul_f64 v[4:5], v[8:9], s[4:5]
	s_mov_b32 s2, 0x252049c0
	s_mov_b32 s3, 0xb97b839a
	v_fma_f64 v[12:13], v[8:9], s[4:5], v[2:3]
	s_delay_alu instid0(VALU_DEP_2) | instskip(SKIP_1) | instid1(VALU_DEP_1)
	v_add_f64 v[10:11], v[2:3], v[4:5]
	s_mov_b32 s5, 0x3c91a626
	v_add_f64 v[2:3], v[2:3], -v[10:11]
	s_delay_alu instid0(VALU_DEP_3) | instskip(NEXT) | instid1(VALU_DEP_2)
	v_add_f64 v[10:11], v[10:11], -v[12:13]
	v_add_f64 v[2:3], v[2:3], v[4:5]
	v_fma_f64 v[4:5], v[8:9], s[4:5], v[4:5]
	s_delay_alu instid0(VALU_DEP_2) | instskip(NEXT) | instid1(VALU_DEP_1)
	v_add_f64 v[2:3], v[10:11], v[2:3]
	v_add_f64 v[2:3], v[2:3], -v[4:5]
	s_delay_alu instid0(VALU_DEP_1) | instskip(SKIP_1) | instid1(VALU_DEP_2)
	v_fma_f64 v[4:5], v[8:9], s[2:3], v[2:3]
	v_cvt_i32_f64_e32 v8, v[8:9]
	v_add_f64 v[2:3], v[12:13], v[4:5]
	s_delay_alu instid0(VALU_DEP_1) | instskip(NEXT) | instid1(VALU_DEP_1)
	v_add_f64 v[10:11], v[2:3], -v[12:13]
	v_add_f64 v[4:5], v[4:5], -v[10:11]
.LBB69_13:
	s_or_b32 exec_lo, exec_lo, s0
	v_mul_f64 v[9:10], v[2:3], v[2:3]
	s_mov_b32 s0, 0xb42fdfa7
	s_mov_b32 s2, 0xf9a43bb8
	;; [unrolled: 1-line block ×6, first 2 shown]
	s_delay_alu instid0(VALU_DEP_2) | instskip(SKIP_1) | instid1(VALU_DEP_1)
	v_mul_f64 v[19:20], v[4:5], 0.5
	v_and_b32_e32 v0, 1, v8
	v_cmp_eq_u32_e32 vcc_lo, 0, v0
	s_delay_alu instid0(VALU_DEP_4)
	v_fma_f64 v[11:12], v[9:10], s[2:3], s[0:1]
	s_mov_b32 s0, 0x9037ab78
	s_mov_b32 s2, 0x46cc5e42
	;; [unrolled: 1-line block ×4, first 2 shown]
	v_mul_f64 v[15:16], v[9:10], 0.5
	v_fma_f64 v[13:14], v[9:10], s[2:3], s[0:1]
	s_mov_b32 s0, 0xa17f65f6
	s_mov_b32 s2, 0x19e83e5c
	;; [unrolled: 1-line block ×4, first 2 shown]
	v_mul_f64 v[21:22], v[2:3], -v[9:10]
	s_delay_alu instid0(VALU_DEP_4) | instskip(NEXT) | instid1(VALU_DEP_4)
	v_fma_f64 v[11:12], v[9:10], v[11:12], s[4:5]
	v_add_f64 v[17:18], -v[15:16], 1.0
	s_delay_alu instid0(VALU_DEP_4) | instskip(SKIP_2) | instid1(VALU_DEP_3)
	v_fma_f64 v[13:14], v[9:10], v[13:14], s[0:1]
	s_mov_b32 s0, 0x19f4ec90
	s_mov_b32 s1, 0x3efa01a0
	v_fma_f64 v[11:12], v[9:10], v[11:12], s[2:3]
	s_mov_b32 s2, 0x11110bb3
	s_mov_b32 s3, 0x3f811111
	s_delay_alu instid0(VALU_DEP_3) | instskip(NEXT) | instid1(VALU_DEP_3)
	v_add_f64 v[23:24], -v[17:18], 1.0
	v_fma_f64 v[13:14], v[9:10], v[13:14], s[0:1]
	s_mov_b32 s0, 0x16c16967
	s_mov_b32 s1, 0xbf56c16c
	s_delay_alu instid0(VALU_DEP_3) | instskip(NEXT) | instid1(VALU_DEP_3)
	v_fma_f64 v[11:12], v[9:10], v[11:12], s[2:3]
	v_add_f64 v[15:16], v[23:24], -v[15:16]
	s_delay_alu instid0(VALU_DEP_3) | instskip(SKIP_2) | instid1(VALU_DEP_3)
	v_fma_f64 v[13:14], v[9:10], v[13:14], s[0:1]
	s_mov_b32 s1, 0x3fa55555
	s_mov_b32 s0, 0x55555555
	v_fma_f64 v[11:12], v[21:22], v[11:12], v[19:20]
	v_mul_f64 v[19:20], v[9:10], v[9:10]
	s_delay_alu instid0(VALU_DEP_4) | instskip(NEXT) | instid1(VALU_DEP_4)
	v_fma_f64 v[15:16], v[2:3], -v[4:5], v[15:16]
	v_fma_f64 v[13:14], v[9:10], v[13:14], s[0:1]
	s_mov_b32 s1, 0xbfc55555
	s_delay_alu instid0(VALU_DEP_4) | instskip(NEXT) | instid1(VALU_DEP_2)
	v_fma_f64 v[4:5], v[9:10], v[11:12], -v[4:5]
	v_fma_f64 v[9:10], v[19:20], v[13:14], v[15:16]
	s_delay_alu instid0(VALU_DEP_2) | instskip(SKIP_2) | instid1(VALU_DEP_2)
	v_fma_f64 v[4:5], v[21:22], s[0:1], v[4:5]
	s_mov_b32 s0, 0
	s_mov_b32 s1, 0x7ff00000
	v_add_f64 v[9:10], v[17:18], v[9:10]
	s_delay_alu instid0(VALU_DEP_2) | instskip(SKIP_2) | instid1(VALU_DEP_2)
	v_add_f64 v[2:3], v[2:3], -v[4:5]
	v_lshlrev_b32_e32 v4, 30, v8
	v_mov_b32_e32 v8, 0
	v_xor_b32_e32 v1, v4, v1
	s_delay_alu instid0(VALU_DEP_1) | instskip(SKIP_1) | instid1(VALU_DEP_1)
	v_dual_cndmask_b32 v0, v9, v2 :: v_dual_and_b32 v1, 0x80000000, v1
	v_cndmask_b32_e32 v2, v10, v3, vcc_lo
	v_xor_b32_e32 v3, v2, v1
	s_delay_alu instid0(VALU_DEP_1) | instskip(SKIP_2) | instid1(VALU_DEP_3)
	v_lshrrev_b32_e32 v2, 24, v3
	v_and_b32_e32 v9, 0x7ff00000, v3
	v_and_b32_e32 v1, 0xfffff, v3
	;; [unrolled: 1-line block ×3, first 2 shown]
	s_delay_alu instid0(VALU_DEP_3) | instskip(SKIP_1) | instid1(VALU_DEP_2)
	v_cmp_ne_u64_e32 vcc_lo, s[0:1], v[8:9]
	s_mov_b32 s0, 1
	v_or_b32_e32 v5, 0x7e, v4
	s_and_saveexec_b32 s1, vcc_lo
	s_delay_alu instid0(SALU_CYCLE_1)
	s_xor_b32 s2, exec_lo, s1
	s_cbranch_execz .LBB69_27
; %bb.14:
	v_dual_mov_b32 v2, v0 :: v_dual_and_b32 v9, 0x7fffffff, v3
	v_mov_b32_e32 v8, v0
	s_mov_b32 s1, 0x407c0000
	s_delay_alu instid0(VALU_DEP_1) | instid1(SALU_CYCLE_1)
	v_cmp_gt_u64_e32 vcc_lo, s[0:1], v[8:9]
	s_and_saveexec_b32 s0, vcc_lo
	s_delay_alu instid0(SALU_CYCLE_1)
	s_xor_b32 s3, exec_lo, s0
	s_cbranch_execz .LBB69_26
; %bb.15:
	v_mov_b32_e32 v5, 0
	s_mov_b32 s4, exec_lo
	v_cmpx_ne_u64_e32 0, v[2:3]
	s_cbranch_execz .LBB69_25
; %bb.16:
	v_bfe_u32 v5, v3, 20, 11
	s_delay_alu instid0(VALU_DEP_1) | instskip(SKIP_1) | instid1(VALU_DEP_2)
	v_sub_nc_u32_e64 v2, 0x3f9, v5 clamp
	v_cmp_eq_u32_e32 vcc_lo, 0, v5
	v_cndmask_b32_e64 v8, v2, 0x3f8, vcc_lo
	v_or_b32_e32 v2, 0x100000, v1
	s_delay_alu instid0(VALU_DEP_2) | instskip(NEXT) | instid1(VALU_DEP_2)
	v_add_nc_u32_e32 v3, 49, v8
	v_cndmask_b32_e32 v1, v2, v1, vcc_lo
	v_add_nc_u32_e32 v11, 48, v8
	s_delay_alu instid0(VALU_DEP_3) | instskip(NEXT) | instid1(VALU_DEP_3)
	v_lshlrev_b64 v[2:3], v3, -1
	v_lshrrev_b64 v[9:10], v8, v[0:1]
	s_delay_alu instid0(VALU_DEP_3) | instskip(NEXT) | instid1(VALU_DEP_3)
	v_lshlrev_b64 v[11:12], v11, 1
	v_not_b32_e32 v13, v3
	s_delay_alu instid0(VALU_DEP_4) | instskip(NEXT) | instid1(VALU_DEP_4)
	v_not_b32_e32 v14, v2
	v_dual_mov_b32 v2, 0 :: v_dual_and_b32 v3, 0x20000, v10
	s_delay_alu instid0(VALU_DEP_2) | instskip(NEXT) | instid1(VALU_DEP_4)
	v_and_b32_e32 v0, v0, v14
	v_and_b32_e32 v1, v1, v13
	s_delay_alu instid0(VALU_DEP_3) | instskip(SKIP_1) | instid1(VALU_DEP_3)
	v_cmp_eq_u64_e64 s0, 0, v[2:3]
	v_lshrrev_b32_e32 v3, 20, v10
	v_cmp_eq_u64_e64 s1, v[0:1], v[11:12]
	v_add_nc_u32_e32 v0, 0xfffffc08, v5
	s_delay_alu instid0(VALU_DEP_1) | instskip(NEXT) | instid1(VALU_DEP_3)
	v_cndmask_b32_e64 v0, v0, 0xfffffc09, vcc_lo
	s_and_b32 s0, s0, s1
	s_delay_alu instid0(SALU_CYCLE_1) | instskip(SKIP_1) | instid1(VALU_DEP_2)
	v_cndmask_b32_e64 v1, 0, 1, s0
	s_mov_b32 s0, exec_lo
	v_add3_u32 v5, v0, v8, v3
	s_delay_alu instid0(VALU_DEP_2) | instskip(SKIP_1) | instid1(VALU_DEP_3)
	v_sub_co_u32 v1, vcc_lo, v9, v1
	v_subrev_co_ci_u32_e32 v11, vcc_lo, 0, v10, vcc_lo
	v_add_nc_u32_e32 v8, -1, v5
	s_delay_alu instid0(VALU_DEP_3) | instskip(NEXT) | instid1(VALU_DEP_3)
	v_add_co_u32 v0, vcc_lo, v1, v9
	v_and_b32_e32 v3, 0x1ffff, v11
	s_delay_alu instid0(VALU_DEP_1) | instskip(NEXT) | instid1(VALU_DEP_4)
	v_add_co_ci_u32_e32 v1, vcc_lo, v3, v10, vcc_lo
                                        ; implicit-def: $vgpr3
	v_cmpx_ne_u32_e32 0, v8
	s_xor_b32 s0, exec_lo, s0
; %bb.17:
	s_delay_alu instid0(VALU_DEP_2) | instskip(SKIP_1) | instid1(VALU_DEP_2)
	v_and_b32_e32 v3, 0x200000, v1
	v_bfe_u32 v9, v1, 21, 1
	v_cmp_eq_u64_e32 vcc_lo, 0, v[2:3]
	s_delay_alu instid0(VALU_DEP_2)
	v_lshrrev_b64 v[0:1], v9, v[0:1]
	v_cndmask_b32_e32 v3, v5, v8, vcc_lo
; %bb.18:
	s_and_not1_saveexec_b32 s0, s0
; %bb.19:
	s_delay_alu instid0(VALU_DEP_2)
	v_bfe_u32 v3, v1, 20, 1
; %bb.20:
	s_or_b32 exec_lo, exec_lo, s0
	v_lshrrev_b32_e32 v0, 17, v1
	s_delay_alu instid0(VALU_DEP_2) | instskip(SKIP_1) | instid1(VALU_DEP_3)
	v_cmp_gt_i32_e32 vcc_lo, 16, v3
	v_cmp_ne_u32_e64 s0, 0, v3
                                        ; implicit-def: $vgpr5
	v_dual_mov_b32 v1, 0 :: v_dual_cndmask_b32 v0, 7, v0
	s_delay_alu instid0(VALU_DEP_1) | instskip(NEXT) | instid1(VALU_DEP_3)
	v_cmp_ne_u64_e32 vcc_lo, 0, v[0:1]
	s_or_b32 s0, s0, vcc_lo
	s_delay_alu instid0(SALU_CYCLE_1) | instskip(NEXT) | instid1(SALU_CYCLE_1)
	s_and_saveexec_b32 s1, s0
	s_xor_b32 s0, exec_lo, s1
; %bb.21:
	v_min_i32_e32 v1, 15, v3
	s_delay_alu instid0(VALU_DEP_1) | instskip(NEXT) | instid1(VALU_DEP_1)
	v_lshl_or_b32 v1, v1, 3, v4
                                        ; implicit-def: $vgpr4
	v_and_or_b32 v5, v0, 7, v1
; %bb.22:
	s_and_not1_saveexec_b32 s0, s0
; %bb.23:
	v_mov_b32_e32 v5, v4
; %bb.24:
	s_or_b32 exec_lo, exec_lo, s0
.LBB69_25:
	s_delay_alu instid0(SALU_CYCLE_1)
	s_or_b32 exec_lo, exec_lo, s4
.LBB69_26:
	s_and_not1_saveexec_b32 s0, s3
	s_delay_alu instid0(SALU_CYCLE_1)
	s_or_b32 exec_lo, exec_lo, s0
                                        ; implicit-def: $vgpr0_vgpr1
                                        ; implicit-def: $vgpr2
.LBB69_27:
	s_and_not1_saveexec_b32 s0, s2
; %bb.28:
	v_cmp_eq_u64_e32 vcc_lo, 0, v[0:1]
	v_cndmask_b32_e32 v5, v2, v5, vcc_lo
; %bb.29:
	s_or_b32 exec_lo, exec_lo, s0
	v_add_co_u32 v0, vcc_lo, s16, v6
	v_add_co_ci_u32_e32 v1, vcc_lo, s17, v7, vcc_lo
	global_store_b8 v[0:1], v5, off
.LBB69_30:
	s_nop 0
	s_sendmsg sendmsg(MSG_DEALLOC_VGPRS)
	s_endpgm
	.section	.rodata,"a",@progbits
	.p2align	6, 0x0
	.amdhsa_kernel _Z11fill_kernelI12hipblaslt_f8Z21hipblaslt_init_deviceIS0_Ev8ABC_dims24hipblaslt_initializationbPT_mmmmmEUlmE2_EvS5_mmT0_
		.amdhsa_group_segment_fixed_size 0
		.amdhsa_private_segment_fixed_size 0
		.amdhsa_kernarg_size 312
		.amdhsa_user_sgpr_count 15
		.amdhsa_user_sgpr_dispatch_ptr 0
		.amdhsa_user_sgpr_queue_ptr 0
		.amdhsa_user_sgpr_kernarg_segment_ptr 1
		.amdhsa_user_sgpr_dispatch_id 0
		.amdhsa_user_sgpr_private_segment_size 0
		.amdhsa_wavefront_size32 1
		.amdhsa_uses_dynamic_stack 0
		.amdhsa_enable_private_segment 0
		.amdhsa_system_sgpr_workgroup_id_x 1
		.amdhsa_system_sgpr_workgroup_id_y 0
		.amdhsa_system_sgpr_workgroup_id_z 0
		.amdhsa_system_sgpr_workgroup_info 0
		.amdhsa_system_vgpr_workitem_id 0
		.amdhsa_next_free_vgpr 33
		.amdhsa_next_free_sgpr 20
		.amdhsa_reserve_vcc 1
		.amdhsa_float_round_mode_32 0
		.amdhsa_float_round_mode_16_64 0
		.amdhsa_float_denorm_mode_32 3
		.amdhsa_float_denorm_mode_16_64 3
		.amdhsa_dx10_clamp 1
		.amdhsa_ieee_mode 1
		.amdhsa_fp16_overflow 0
		.amdhsa_workgroup_processor_mode 1
		.amdhsa_memory_ordered 1
		.amdhsa_forward_progress 0
		.amdhsa_shared_vgpr_count 0
		.amdhsa_exception_fp_ieee_invalid_op 0
		.amdhsa_exception_fp_denorm_src 0
		.amdhsa_exception_fp_ieee_div_zero 0
		.amdhsa_exception_fp_ieee_overflow 0
		.amdhsa_exception_fp_ieee_underflow 0
		.amdhsa_exception_fp_ieee_inexact 0
		.amdhsa_exception_int_div_zero 0
	.end_amdhsa_kernel
	.section	.text._Z11fill_kernelI12hipblaslt_f8Z21hipblaslt_init_deviceIS0_Ev8ABC_dims24hipblaslt_initializationbPT_mmmmmEUlmE2_EvS5_mmT0_,"axG",@progbits,_Z11fill_kernelI12hipblaslt_f8Z21hipblaslt_init_deviceIS0_Ev8ABC_dims24hipblaslt_initializationbPT_mmmmmEUlmE2_EvS5_mmT0_,comdat
.Lfunc_end69:
	.size	_Z11fill_kernelI12hipblaslt_f8Z21hipblaslt_init_deviceIS0_Ev8ABC_dims24hipblaslt_initializationbPT_mmmmmEUlmE2_EvS5_mmT0_, .Lfunc_end69-_Z11fill_kernelI12hipblaslt_f8Z21hipblaslt_init_deviceIS0_Ev8ABC_dims24hipblaslt_initializationbPT_mmmmmEUlmE2_EvS5_mmT0_
                                        ; -- End function
	.section	.AMDGPU.csdata,"",@progbits
; Kernel info:
; codeLenInByte = 4156
; NumSgprs: 22
; NumVgprs: 33
; ScratchSize: 0
; MemoryBound: 0
; FloatMode: 240
; IeeeMode: 1
; LDSByteSize: 0 bytes/workgroup (compile time only)
; SGPRBlocks: 2
; VGPRBlocks: 4
; NumSGPRsForWavesPerEU: 22
; NumVGPRsForWavesPerEU: 33
; Occupancy: 16
; WaveLimiterHint : 0
; COMPUTE_PGM_RSRC2:SCRATCH_EN: 0
; COMPUTE_PGM_RSRC2:USER_SGPR: 15
; COMPUTE_PGM_RSRC2:TRAP_HANDLER: 0
; COMPUTE_PGM_RSRC2:TGID_X_EN: 1
; COMPUTE_PGM_RSRC2:TGID_Y_EN: 0
; COMPUTE_PGM_RSRC2:TGID_Z_EN: 0
; COMPUTE_PGM_RSRC2:TIDIG_COMP_CNT: 0
	.section	.text._Z11fill_kernelI12hipblaslt_f8Z21hipblaslt_init_deviceIS0_Ev8ABC_dims24hipblaslt_initializationbPT_mmmmmEUlmE3_EvS5_mmT0_,"axG",@progbits,_Z11fill_kernelI12hipblaslt_f8Z21hipblaslt_init_deviceIS0_Ev8ABC_dims24hipblaslt_initializationbPT_mmmmmEUlmE3_EvS5_mmT0_,comdat
	.protected	_Z11fill_kernelI12hipblaslt_f8Z21hipblaslt_init_deviceIS0_Ev8ABC_dims24hipblaslt_initializationbPT_mmmmmEUlmE3_EvS5_mmT0_ ; -- Begin function _Z11fill_kernelI12hipblaslt_f8Z21hipblaslt_init_deviceIS0_Ev8ABC_dims24hipblaslt_initializationbPT_mmmmmEUlmE3_EvS5_mmT0_
	.globl	_Z11fill_kernelI12hipblaslt_f8Z21hipblaslt_init_deviceIS0_Ev8ABC_dims24hipblaslt_initializationbPT_mmmmmEUlmE3_EvS5_mmT0_
	.p2align	8
	.type	_Z11fill_kernelI12hipblaslt_f8Z21hipblaslt_init_deviceIS0_Ev8ABC_dims24hipblaslt_initializationbPT_mmmmmEUlmE3_EvS5_mmT0_,@function
_Z11fill_kernelI12hipblaslt_f8Z21hipblaslt_init_deviceIS0_Ev8ABC_dims24hipblaslt_initializationbPT_mmmmmEUlmE3_EvS5_mmT0_: ; @_Z11fill_kernelI12hipblaslt_f8Z21hipblaslt_init_deviceIS0_Ev8ABC_dims24hipblaslt_initializationbPT_mmmmmEUlmE3_EvS5_mmT0_
; %bb.0:
	s_clause 0x1
	s_load_b32 s2, s[0:1], 0x44
	s_load_b128 s[16:19], s[0:1], 0x0
	s_waitcnt lgkmcnt(0)
	s_and_b32 s2, s2, 0xffff
	s_delay_alu instid0(SALU_CYCLE_1) | instskip(SKIP_2) | instid1(VALU_DEP_1)
	v_mad_u64_u32 v[1:2], null, s15, s2, v[0:1]
	v_mov_b32_e32 v2, 0
	s_mov_b32 s2, exec_lo
	v_cmpx_gt_u64_e64 s[18:19], v[1:2]
	s_cbranch_execz .LBB70_30
; %bb.1:
	s_clause 0x1
	s_load_b64 s[2:3], s[0:1], 0x10
	s_load_b256 s[4:11], s[0:1], 0x18
	v_mov_b32_e32 v0, v2
	s_waitcnt lgkmcnt(0)
	v_add_co_u32 v6, s0, v1, s2
	s_delay_alu instid0(VALU_DEP_1) | instskip(NEXT) | instid1(VALU_DEP_1)
	v_add_co_ci_u32_e64 v7, null, 0, s3, s0
	v_or_b32_e32 v1, s9, v7
	s_delay_alu instid0(VALU_DEP_1) | instskip(SKIP_1) | instid1(SALU_CYCLE_1)
	v_cmp_ne_u64_e32 vcc_lo, 0, v[0:1]
                                        ; implicit-def: $vgpr0_vgpr1
	s_and_saveexec_b32 s0, vcc_lo
	s_xor_b32 s1, exec_lo, s0
	s_cbranch_execz .LBB70_3
; %bb.2:
	v_cvt_f32_u32_e32 v0, s8
	v_cvt_f32_u32_e32 v1, s9
	s_sub_u32 s0, 0, s8
	s_subb_u32 s2, 0, s9
	s_delay_alu instid0(VALU_DEP_1) | instskip(NEXT) | instid1(VALU_DEP_1)
	v_fmamk_f32 v0, v1, 0x4f800000, v0
	v_rcp_f32_e32 v0, v0
	s_waitcnt_depctr 0xfff
	v_mul_f32_e32 v0, 0x5f7ffffc, v0
	s_delay_alu instid0(VALU_DEP_1) | instskip(NEXT) | instid1(VALU_DEP_1)
	v_mul_f32_e32 v1, 0x2f800000, v0
	v_trunc_f32_e32 v1, v1
	s_delay_alu instid0(VALU_DEP_1) | instskip(SKIP_1) | instid1(VALU_DEP_2)
	v_fmamk_f32 v0, v1, 0xcf800000, v0
	v_cvt_u32_f32_e32 v1, v1
	v_cvt_u32_f32_e32 v0, v0
	s_delay_alu instid0(VALU_DEP_2) | instskip(NEXT) | instid1(VALU_DEP_2)
	v_mul_lo_u32 v2, s0, v1
	v_mul_hi_u32 v3, s0, v0
	v_mul_lo_u32 v4, s2, v0
	s_delay_alu instid0(VALU_DEP_2) | instskip(SKIP_1) | instid1(VALU_DEP_2)
	v_add_nc_u32_e32 v2, v3, v2
	v_mul_lo_u32 v3, s0, v0
	v_add_nc_u32_e32 v2, v2, v4
	s_delay_alu instid0(VALU_DEP_2) | instskip(NEXT) | instid1(VALU_DEP_2)
	v_mul_hi_u32 v4, v0, v3
	v_mul_lo_u32 v5, v0, v2
	v_mul_hi_u32 v8, v0, v2
	v_mul_hi_u32 v9, v1, v3
	v_mul_lo_u32 v3, v1, v3
	v_mul_hi_u32 v10, v1, v2
	v_mul_lo_u32 v2, v1, v2
	v_add_co_u32 v4, vcc_lo, v4, v5
	v_add_co_ci_u32_e32 v5, vcc_lo, 0, v8, vcc_lo
	s_delay_alu instid0(VALU_DEP_2) | instskip(NEXT) | instid1(VALU_DEP_2)
	v_add_co_u32 v3, vcc_lo, v4, v3
	v_add_co_ci_u32_e32 v3, vcc_lo, v5, v9, vcc_lo
	v_add_co_ci_u32_e32 v4, vcc_lo, 0, v10, vcc_lo
	s_delay_alu instid0(VALU_DEP_2) | instskip(NEXT) | instid1(VALU_DEP_2)
	v_add_co_u32 v2, vcc_lo, v3, v2
	v_add_co_ci_u32_e32 v3, vcc_lo, 0, v4, vcc_lo
	s_delay_alu instid0(VALU_DEP_2) | instskip(NEXT) | instid1(VALU_DEP_2)
	v_add_co_u32 v0, vcc_lo, v0, v2
	v_add_co_ci_u32_e32 v1, vcc_lo, v1, v3, vcc_lo
	s_delay_alu instid0(VALU_DEP_2) | instskip(SKIP_1) | instid1(VALU_DEP_3)
	v_mul_hi_u32 v2, s0, v0
	v_mul_lo_u32 v4, s2, v0
	v_mul_lo_u32 v3, s0, v1
	s_delay_alu instid0(VALU_DEP_1) | instskip(SKIP_1) | instid1(VALU_DEP_2)
	v_add_nc_u32_e32 v2, v2, v3
	v_mul_lo_u32 v3, s0, v0
	v_add_nc_u32_e32 v2, v2, v4
	s_delay_alu instid0(VALU_DEP_2) | instskip(NEXT) | instid1(VALU_DEP_2)
	v_mul_hi_u32 v4, v0, v3
	v_mul_lo_u32 v5, v0, v2
	v_mul_hi_u32 v8, v0, v2
	v_mul_hi_u32 v9, v1, v3
	v_mul_lo_u32 v3, v1, v3
	v_mul_hi_u32 v10, v1, v2
	v_mul_lo_u32 v2, v1, v2
	v_add_co_u32 v4, vcc_lo, v4, v5
	v_add_co_ci_u32_e32 v5, vcc_lo, 0, v8, vcc_lo
	s_delay_alu instid0(VALU_DEP_2) | instskip(NEXT) | instid1(VALU_DEP_2)
	v_add_co_u32 v3, vcc_lo, v4, v3
	v_add_co_ci_u32_e32 v3, vcc_lo, v5, v9, vcc_lo
	v_add_co_ci_u32_e32 v4, vcc_lo, 0, v10, vcc_lo
	s_delay_alu instid0(VALU_DEP_2) | instskip(NEXT) | instid1(VALU_DEP_2)
	v_add_co_u32 v2, vcc_lo, v3, v2
	v_add_co_ci_u32_e32 v3, vcc_lo, 0, v4, vcc_lo
	s_delay_alu instid0(VALU_DEP_2) | instskip(NEXT) | instid1(VALU_DEP_2)
	v_add_co_u32 v4, vcc_lo, v0, v2
	v_add_co_ci_u32_e32 v8, vcc_lo, v1, v3, vcc_lo
	s_delay_alu instid0(VALU_DEP_2) | instskip(SKIP_1) | instid1(VALU_DEP_3)
	v_mul_hi_u32 v9, v6, v4
	v_mad_u64_u32 v[2:3], null, v7, v4, 0
	v_mad_u64_u32 v[0:1], null, v6, v8, 0
	;; [unrolled: 1-line block ×3, first 2 shown]
	s_delay_alu instid0(VALU_DEP_2) | instskip(NEXT) | instid1(VALU_DEP_3)
	v_add_co_u32 v0, vcc_lo, v9, v0
	v_add_co_ci_u32_e32 v1, vcc_lo, 0, v1, vcc_lo
	s_delay_alu instid0(VALU_DEP_2) | instskip(NEXT) | instid1(VALU_DEP_2)
	v_add_co_u32 v0, vcc_lo, v0, v2
	v_add_co_ci_u32_e32 v0, vcc_lo, v1, v3, vcc_lo
	v_add_co_ci_u32_e32 v1, vcc_lo, 0, v5, vcc_lo
	s_delay_alu instid0(VALU_DEP_2) | instskip(NEXT) | instid1(VALU_DEP_2)
	v_add_co_u32 v2, vcc_lo, v0, v4
	v_add_co_ci_u32_e32 v3, vcc_lo, 0, v1, vcc_lo
	s_delay_alu instid0(VALU_DEP_2) | instskip(SKIP_1) | instid1(VALU_DEP_3)
	v_mul_lo_u32 v4, s9, v2
	v_mad_u64_u32 v[0:1], null, s8, v2, 0
	v_mul_lo_u32 v5, s8, v3
	s_delay_alu instid0(VALU_DEP_2) | instskip(NEXT) | instid1(VALU_DEP_2)
	v_sub_co_u32 v0, vcc_lo, v6, v0
	v_add3_u32 v1, v1, v5, v4
	s_delay_alu instid0(VALU_DEP_1) | instskip(NEXT) | instid1(VALU_DEP_1)
	v_sub_nc_u32_e32 v4, v7, v1
	v_subrev_co_ci_u32_e64 v4, s0, s9, v4, vcc_lo
	v_add_co_u32 v5, s0, v2, 2
	s_delay_alu instid0(VALU_DEP_1) | instskip(SKIP_3) | instid1(VALU_DEP_3)
	v_add_co_ci_u32_e64 v8, s0, 0, v3, s0
	v_sub_co_u32 v9, s0, v0, s8
	v_sub_co_ci_u32_e32 v1, vcc_lo, v7, v1, vcc_lo
	v_subrev_co_ci_u32_e64 v4, s0, 0, v4, s0
	v_cmp_le_u32_e32 vcc_lo, s8, v9
	s_delay_alu instid0(VALU_DEP_3) | instskip(SKIP_1) | instid1(VALU_DEP_4)
	v_cmp_eq_u32_e64 s0, s9, v1
	v_cndmask_b32_e64 v9, 0, -1, vcc_lo
	v_cmp_le_u32_e32 vcc_lo, s9, v4
	v_cndmask_b32_e64 v10, 0, -1, vcc_lo
	v_cmp_le_u32_e32 vcc_lo, s8, v0
	;; [unrolled: 2-line block ×3, first 2 shown]
	v_cndmask_b32_e64 v11, 0, -1, vcc_lo
	v_cmp_eq_u32_e32 vcc_lo, s9, v4
	s_delay_alu instid0(VALU_DEP_2) | instskip(SKIP_3) | instid1(VALU_DEP_3)
	v_cndmask_b32_e64 v0, v11, v0, s0
	v_cndmask_b32_e32 v4, v10, v9, vcc_lo
	v_add_co_u32 v9, vcc_lo, v2, 1
	v_add_co_ci_u32_e32 v10, vcc_lo, 0, v3, vcc_lo
	v_cmp_ne_u32_e32 vcc_lo, 0, v4
	s_delay_alu instid0(VALU_DEP_2) | instskip(SKIP_1) | instid1(VALU_DEP_2)
	v_dual_cndmask_b32 v1, v10, v8 :: v_dual_cndmask_b32 v4, v9, v5
	v_cmp_ne_u32_e32 vcc_lo, 0, v0
	v_dual_cndmask_b32 v1, v3, v1 :: v_dual_cndmask_b32 v0, v2, v4
.LBB70_3:
	s_and_not1_saveexec_b32 s0, s1
	s_cbranch_execz .LBB70_5
; %bb.4:
	v_cvt_f32_u32_e32 v0, s8
	s_sub_i32 s1, 0, s8
	s_delay_alu instid0(VALU_DEP_1) | instskip(SKIP_2) | instid1(VALU_DEP_1)
	v_rcp_iflag_f32_e32 v0, v0
	s_waitcnt_depctr 0xfff
	v_mul_f32_e32 v0, 0x4f7ffffe, v0
	v_cvt_u32_f32_e32 v0, v0
	s_delay_alu instid0(VALU_DEP_1) | instskip(NEXT) | instid1(VALU_DEP_1)
	v_mul_lo_u32 v1, s1, v0
	v_mul_hi_u32 v1, v0, v1
	s_delay_alu instid0(VALU_DEP_1) | instskip(NEXT) | instid1(VALU_DEP_1)
	v_add_nc_u32_e32 v0, v0, v1
	v_mul_hi_u32 v0, v6, v0
	s_delay_alu instid0(VALU_DEP_1) | instskip(SKIP_1) | instid1(VALU_DEP_2)
	v_mul_lo_u32 v1, v0, s8
	v_add_nc_u32_e32 v2, 1, v0
	v_sub_nc_u32_e32 v1, v6, v1
	s_delay_alu instid0(VALU_DEP_1) | instskip(SKIP_1) | instid1(VALU_DEP_2)
	v_subrev_nc_u32_e32 v3, s8, v1
	v_cmp_le_u32_e32 vcc_lo, s8, v1
	v_dual_cndmask_b32 v1, v1, v3 :: v_dual_cndmask_b32 v0, v0, v2
	s_delay_alu instid0(VALU_DEP_1) | instskip(NEXT) | instid1(VALU_DEP_2)
	v_cmp_le_u32_e32 vcc_lo, s8, v1
	v_dual_mov_b32 v1, 0 :: v_dual_add_nc_u32 v2, 1, v0
	s_delay_alu instid0(VALU_DEP_1)
	v_cndmask_b32_e32 v0, v0, v2, vcc_lo
.LBB70_5:
	s_or_b32 exec_lo, exec_lo, s0
	s_delay_alu instid0(VALU_DEP_1) | instskip(NEXT) | instid1(VALU_DEP_2)
	v_mul_lo_u32 v4, v1, s8
	v_mul_lo_u32 v5, v0, s9
	v_mad_u64_u32 v[2:3], null, v0, s8, 0
	s_delay_alu instid0(VALU_DEP_1) | instskip(NEXT) | instid1(VALU_DEP_2)
	v_add3_u32 v3, v3, v5, v4
	v_sub_co_u32 v4, vcc_lo, v6, v2
	v_mov_b32_e32 v2, 0
	s_delay_alu instid0(VALU_DEP_3) | instskip(NEXT) | instid1(VALU_DEP_1)
	v_sub_co_ci_u32_e32 v5, vcc_lo, v7, v3, vcc_lo
	v_or_b32_e32 v3, s11, v5
	s_delay_alu instid0(VALU_DEP_1) | instskip(SKIP_1) | instid1(SALU_CYCLE_1)
	v_cmp_ne_u64_e32 vcc_lo, 0, v[2:3]
                                        ; implicit-def: $vgpr2_vgpr3
	s_and_saveexec_b32 s0, vcc_lo
	s_xor_b32 s1, exec_lo, s0
	s_cbranch_execz .LBB70_7
; %bb.6:
	v_cvt_f32_u32_e32 v2, s10
	v_cvt_f32_u32_e32 v3, s11
	s_sub_u32 s0, 0, s10
	s_subb_u32 s2, 0, s11
	s_delay_alu instid0(VALU_DEP_1) | instskip(NEXT) | instid1(VALU_DEP_1)
	v_fmamk_f32 v2, v3, 0x4f800000, v2
	v_rcp_f32_e32 v2, v2
	s_waitcnt_depctr 0xfff
	v_mul_f32_e32 v2, 0x5f7ffffc, v2
	s_delay_alu instid0(VALU_DEP_1) | instskip(NEXT) | instid1(VALU_DEP_1)
	v_mul_f32_e32 v3, 0x2f800000, v2
	v_trunc_f32_e32 v3, v3
	s_delay_alu instid0(VALU_DEP_1) | instskip(SKIP_1) | instid1(VALU_DEP_2)
	v_fmamk_f32 v2, v3, 0xcf800000, v2
	v_cvt_u32_f32_e32 v3, v3
	v_cvt_u32_f32_e32 v2, v2
	s_delay_alu instid0(VALU_DEP_2) | instskip(NEXT) | instid1(VALU_DEP_2)
	v_mul_lo_u32 v8, s0, v3
	v_mul_hi_u32 v9, s0, v2
	v_mul_lo_u32 v10, s2, v2
	s_delay_alu instid0(VALU_DEP_2) | instskip(SKIP_1) | instid1(VALU_DEP_2)
	v_add_nc_u32_e32 v8, v9, v8
	v_mul_lo_u32 v9, s0, v2
	v_add_nc_u32_e32 v8, v8, v10
	s_delay_alu instid0(VALU_DEP_2) | instskip(NEXT) | instid1(VALU_DEP_2)
	v_mul_hi_u32 v10, v2, v9
	v_mul_lo_u32 v11, v2, v8
	v_mul_hi_u32 v12, v2, v8
	v_mul_hi_u32 v13, v3, v9
	v_mul_lo_u32 v9, v3, v9
	v_mul_hi_u32 v14, v3, v8
	v_mul_lo_u32 v8, v3, v8
	v_add_co_u32 v10, vcc_lo, v10, v11
	v_add_co_ci_u32_e32 v11, vcc_lo, 0, v12, vcc_lo
	s_delay_alu instid0(VALU_DEP_2) | instskip(NEXT) | instid1(VALU_DEP_2)
	v_add_co_u32 v9, vcc_lo, v10, v9
	v_add_co_ci_u32_e32 v9, vcc_lo, v11, v13, vcc_lo
	v_add_co_ci_u32_e32 v10, vcc_lo, 0, v14, vcc_lo
	s_delay_alu instid0(VALU_DEP_2) | instskip(NEXT) | instid1(VALU_DEP_2)
	v_add_co_u32 v8, vcc_lo, v9, v8
	v_add_co_ci_u32_e32 v9, vcc_lo, 0, v10, vcc_lo
	s_delay_alu instid0(VALU_DEP_2) | instskip(NEXT) | instid1(VALU_DEP_2)
	v_add_co_u32 v2, vcc_lo, v2, v8
	v_add_co_ci_u32_e32 v3, vcc_lo, v3, v9, vcc_lo
	s_delay_alu instid0(VALU_DEP_2) | instskip(SKIP_1) | instid1(VALU_DEP_3)
	v_mul_hi_u32 v8, s0, v2
	v_mul_lo_u32 v10, s2, v2
	v_mul_lo_u32 v9, s0, v3
	s_delay_alu instid0(VALU_DEP_1) | instskip(SKIP_1) | instid1(VALU_DEP_2)
	v_add_nc_u32_e32 v8, v8, v9
	v_mul_lo_u32 v9, s0, v2
	v_add_nc_u32_e32 v8, v8, v10
	s_delay_alu instid0(VALU_DEP_2) | instskip(NEXT) | instid1(VALU_DEP_2)
	v_mul_hi_u32 v10, v2, v9
	v_mul_lo_u32 v11, v2, v8
	v_mul_hi_u32 v12, v2, v8
	v_mul_hi_u32 v13, v3, v9
	v_mul_lo_u32 v9, v3, v9
	v_mul_hi_u32 v14, v3, v8
	v_mul_lo_u32 v8, v3, v8
	v_add_co_u32 v10, vcc_lo, v10, v11
	v_add_co_ci_u32_e32 v11, vcc_lo, 0, v12, vcc_lo
	s_delay_alu instid0(VALU_DEP_2) | instskip(NEXT) | instid1(VALU_DEP_2)
	v_add_co_u32 v9, vcc_lo, v10, v9
	v_add_co_ci_u32_e32 v9, vcc_lo, v11, v13, vcc_lo
	v_add_co_ci_u32_e32 v10, vcc_lo, 0, v14, vcc_lo
	s_delay_alu instid0(VALU_DEP_2) | instskip(NEXT) | instid1(VALU_DEP_2)
	v_add_co_u32 v8, vcc_lo, v9, v8
	v_add_co_ci_u32_e32 v9, vcc_lo, 0, v10, vcc_lo
	s_delay_alu instid0(VALU_DEP_2) | instskip(NEXT) | instid1(VALU_DEP_2)
	v_add_co_u32 v10, vcc_lo, v2, v8
	v_add_co_ci_u32_e32 v12, vcc_lo, v3, v9, vcc_lo
	s_delay_alu instid0(VALU_DEP_2) | instskip(SKIP_1) | instid1(VALU_DEP_3)
	v_mul_hi_u32 v13, v4, v10
	v_mad_u64_u32 v[8:9], null, v5, v10, 0
	v_mad_u64_u32 v[2:3], null, v4, v12, 0
	;; [unrolled: 1-line block ×3, first 2 shown]
	s_delay_alu instid0(VALU_DEP_2) | instskip(NEXT) | instid1(VALU_DEP_3)
	v_add_co_u32 v2, vcc_lo, v13, v2
	v_add_co_ci_u32_e32 v3, vcc_lo, 0, v3, vcc_lo
	s_delay_alu instid0(VALU_DEP_2) | instskip(NEXT) | instid1(VALU_DEP_2)
	v_add_co_u32 v2, vcc_lo, v2, v8
	v_add_co_ci_u32_e32 v2, vcc_lo, v3, v9, vcc_lo
	v_add_co_ci_u32_e32 v3, vcc_lo, 0, v11, vcc_lo
	s_delay_alu instid0(VALU_DEP_2) | instskip(NEXT) | instid1(VALU_DEP_2)
	v_add_co_u32 v8, vcc_lo, v2, v10
	v_add_co_ci_u32_e32 v9, vcc_lo, 0, v3, vcc_lo
	s_delay_alu instid0(VALU_DEP_2) | instskip(SKIP_1) | instid1(VALU_DEP_3)
	v_mul_lo_u32 v10, s11, v8
	v_mad_u64_u32 v[2:3], null, s10, v8, 0
	v_mul_lo_u32 v11, s10, v9
	s_delay_alu instid0(VALU_DEP_2) | instskip(NEXT) | instid1(VALU_DEP_2)
	v_sub_co_u32 v2, vcc_lo, v4, v2
	v_add3_u32 v3, v3, v11, v10
	s_delay_alu instid0(VALU_DEP_1) | instskip(NEXT) | instid1(VALU_DEP_1)
	v_sub_nc_u32_e32 v10, v5, v3
	v_subrev_co_ci_u32_e64 v10, s0, s11, v10, vcc_lo
	v_add_co_u32 v11, s0, v8, 2
	s_delay_alu instid0(VALU_DEP_1) | instskip(SKIP_3) | instid1(VALU_DEP_3)
	v_add_co_ci_u32_e64 v12, s0, 0, v9, s0
	v_sub_co_u32 v13, s0, v2, s10
	v_sub_co_ci_u32_e32 v3, vcc_lo, v5, v3, vcc_lo
	v_subrev_co_ci_u32_e64 v10, s0, 0, v10, s0
	v_cmp_le_u32_e32 vcc_lo, s10, v13
	s_delay_alu instid0(VALU_DEP_3) | instskip(SKIP_1) | instid1(VALU_DEP_4)
	v_cmp_eq_u32_e64 s0, s11, v3
	v_cndmask_b32_e64 v13, 0, -1, vcc_lo
	v_cmp_le_u32_e32 vcc_lo, s11, v10
	v_cndmask_b32_e64 v14, 0, -1, vcc_lo
	v_cmp_le_u32_e32 vcc_lo, s10, v2
	v_cndmask_b32_e64 v2, 0, -1, vcc_lo
	v_cmp_le_u32_e32 vcc_lo, s11, v3
	v_cndmask_b32_e64 v15, 0, -1, vcc_lo
	v_cmp_eq_u32_e32 vcc_lo, s11, v10
	s_delay_alu instid0(VALU_DEP_2) | instskip(SKIP_3) | instid1(VALU_DEP_3)
	v_cndmask_b32_e64 v2, v15, v2, s0
	v_cndmask_b32_e32 v10, v14, v13, vcc_lo
	v_add_co_u32 v13, vcc_lo, v8, 1
	v_add_co_ci_u32_e32 v14, vcc_lo, 0, v9, vcc_lo
	v_cmp_ne_u32_e32 vcc_lo, 0, v10
	s_delay_alu instid0(VALU_DEP_2) | instskip(SKIP_1) | instid1(VALU_DEP_2)
	v_dual_cndmask_b32 v3, v14, v12 :: v_dual_cndmask_b32 v10, v13, v11
	v_cmp_ne_u32_e32 vcc_lo, 0, v2
	v_dual_cndmask_b32 v3, v9, v3 :: v_dual_cndmask_b32 v2, v8, v10
.LBB70_7:
	s_and_not1_saveexec_b32 s0, s1
	s_cbranch_execz .LBB70_9
; %bb.8:
	v_cvt_f32_u32_e32 v2, s10
	s_sub_i32 s1, 0, s10
	s_delay_alu instid0(VALU_DEP_1) | instskip(SKIP_2) | instid1(VALU_DEP_1)
	v_rcp_iflag_f32_e32 v2, v2
	s_waitcnt_depctr 0xfff
	v_mul_f32_e32 v2, 0x4f7ffffe, v2
	v_cvt_u32_f32_e32 v2, v2
	s_delay_alu instid0(VALU_DEP_1) | instskip(NEXT) | instid1(VALU_DEP_1)
	v_mul_lo_u32 v3, s1, v2
	v_mul_hi_u32 v3, v2, v3
	s_delay_alu instid0(VALU_DEP_1) | instskip(NEXT) | instid1(VALU_DEP_1)
	v_add_nc_u32_e32 v2, v2, v3
	v_mul_hi_u32 v2, v4, v2
	s_delay_alu instid0(VALU_DEP_1) | instskip(SKIP_1) | instid1(VALU_DEP_2)
	v_mul_lo_u32 v3, v2, s10
	v_add_nc_u32_e32 v8, 1, v2
	v_sub_nc_u32_e32 v3, v4, v3
	s_delay_alu instid0(VALU_DEP_1) | instskip(SKIP_1) | instid1(VALU_DEP_2)
	v_subrev_nc_u32_e32 v9, s10, v3
	v_cmp_le_u32_e32 vcc_lo, s10, v3
	v_dual_cndmask_b32 v3, v3, v9 :: v_dual_cndmask_b32 v2, v2, v8
	s_delay_alu instid0(VALU_DEP_1) | instskip(NEXT) | instid1(VALU_DEP_2)
	v_cmp_le_u32_e32 vcc_lo, s10, v3
	v_dual_mov_b32 v3, 0 :: v_dual_add_nc_u32 v8, 1, v2
	s_delay_alu instid0(VALU_DEP_1)
	v_cndmask_b32_e32 v2, v2, v8, vcc_lo
.LBB70_9:
	s_or_b32 exec_lo, exec_lo, s0
	s_delay_alu instid0(VALU_DEP_1) | instskip(NEXT) | instid1(VALU_DEP_2)
	v_mul_lo_u32 v12, v3, s10
	v_mul_lo_u32 v13, v2, s11
	v_mad_u64_u32 v[8:9], null, v2, s10, 0
	v_mad_u64_u32 v[10:11], null, v0, s6, v[2:3]
	v_mul_lo_u32 v0, v0, s7
	v_mul_lo_u32 v1, v1, s6
	s_delay_alu instid0(VALU_DEP_4) | instskip(NEXT) | instid1(VALU_DEP_2)
	v_add3_u32 v2, v9, v13, v12
	v_add3_u32 v3, v1, v11, v0
	v_sub_co_u32 v0, vcc_lo, v4, v8
	s_delay_alu instid0(VALU_DEP_3) | instskip(SKIP_1) | instid1(VALU_DEP_4)
	v_sub_co_ci_u32_e32 v1, vcc_lo, v5, v2, vcc_lo
	v_mul_lo_u32 v4, v10, s5
	v_mul_lo_u32 v5, v3, s4
                                        ; implicit-def: $vgpr8
	s_delay_alu instid0(VALU_DEP_3) | instskip(NEXT) | instid1(VALU_DEP_1)
	v_mad_u64_u32 v[2:3], null, v10, s4, v[0:1]
	v_add3_u32 v3, v5, v3, v4
	s_delay_alu instid0(VALU_DEP_2) | instskip(NEXT) | instid1(VALU_DEP_2)
	v_cvt_f64_u32_e32 v[4:5], v2
	v_cvt_f64_u32_e32 v[0:1], v3
	v_cmp_lt_u64_e32 vcc_lo, 0x3fffffff, v[2:3]
                                        ; implicit-def: $vgpr2_vgpr3
	s_delay_alu instid0(VALU_DEP_2) | instskip(NEXT) | instid1(VALU_DEP_1)
	v_ldexp_f64 v[0:1], v[0:1], 32
	v_add_f64 v[4:5], v[0:1], v[4:5]
                                        ; implicit-def: $vgpr0_vgpr1
	s_and_saveexec_b32 s0, vcc_lo
	s_delay_alu instid0(SALU_CYCLE_1)
	s_xor_b32 s1, exec_lo, s0
	s_cbranch_execz .LBB70_11
; %bb.10:
	s_delay_alu instid0(VALU_DEP_1)
	v_trig_preop_f64 v[0:1], v[4:5], 0
	v_trig_preop_f64 v[2:3], v[4:5], 1
	;; [unrolled: 1-line block ×3, first 2 shown]
	v_mov_b32_e32 v24, 0
	s_mov_b32 s2, 0x54442d18
	s_mov_b32 s3, 0x3ff921fb
	;; [unrolled: 1-line block ×4, first 2 shown]
	s_delay_alu instid0(VALU_DEP_4) | instskip(NEXT) | instid1(VALU_DEP_4)
	v_mul_f64 v[8:9], v[0:1], v[4:5]
	v_mul_f64 v[10:11], v[2:3], v[4:5]
	s_delay_alu instid0(VALU_DEP_4) | instskip(NEXT) | instid1(VALU_DEP_3)
	v_mul_f64 v[22:23], v[16:17], v[4:5]
	v_fma_f64 v[0:1], v[0:1], v[4:5], -v[8:9]
	s_delay_alu instid0(VALU_DEP_3) | instskip(NEXT) | instid1(VALU_DEP_3)
	v_fma_f64 v[2:3], v[2:3], v[4:5], -v[10:11]
	v_fma_f64 v[4:5], v[16:17], v[4:5], -v[22:23]
	s_delay_alu instid0(VALU_DEP_3) | instskip(NEXT) | instid1(VALU_DEP_1)
	v_add_f64 v[12:13], v[10:11], v[0:1]
	v_add_f64 v[14:15], v[12:13], -v[10:11]
	v_add_f64 v[20:21], v[8:9], v[12:13]
	s_delay_alu instid0(VALU_DEP_2) | instskip(SKIP_1) | instid1(VALU_DEP_3)
	v_add_f64 v[18:19], v[12:13], -v[14:15]
	v_add_f64 v[0:1], v[0:1], -v[14:15]
	v_ldexp_f64 v[14:15], v[20:21], -2
	v_add_f64 v[8:9], v[20:21], -v[8:9]
	s_delay_alu instid0(VALU_DEP_4) | instskip(SKIP_1) | instid1(VALU_DEP_4)
	v_add_f64 v[10:11], v[10:11], -v[18:19]
	v_add_f64 v[18:19], v[22:23], v[2:3]
	v_cmp_neq_f64_e64 vcc_lo, 0x7ff00000, |v[14:15]|
	s_delay_alu instid0(VALU_DEP_4) | instskip(NEXT) | instid1(VALU_DEP_4)
	v_add_f64 v[8:9], v[12:13], -v[8:9]
	v_add_f64 v[0:1], v[0:1], v[10:11]
	v_fract_f64_e32 v[10:11], v[14:15]
	s_delay_alu instid0(VALU_DEP_2) | instskip(NEXT) | instid1(VALU_DEP_2)
	v_add_f64 v[12:13], v[18:19], v[0:1]
	v_dual_cndmask_b32 v11, 0, v11 :: v_dual_cndmask_b32 v10, 0, v10
	s_delay_alu instid0(VALU_DEP_1) | instskip(NEXT) | instid1(VALU_DEP_3)
	v_ldexp_f64 v[10:11], v[10:11], 2
	v_add_f64 v[14:15], v[8:9], v[12:13]
	s_delay_alu instid0(VALU_DEP_1) | instskip(SKIP_1) | instid1(VALU_DEP_2)
	v_add_f64 v[20:21], v[14:15], v[10:11]
	v_add_f64 v[8:9], v[14:15], -v[8:9]
	v_cmp_gt_f64_e32 vcc_lo, 0, v[20:21]
	v_add_f64 v[20:21], v[18:19], -v[22:23]
	s_delay_alu instid0(VALU_DEP_3) | instskip(SKIP_1) | instid1(VALU_DEP_3)
	v_add_f64 v[8:9], v[12:13], -v[8:9]
	v_cndmask_b32_e64 v25, 0, 0x40100000, vcc_lo
	v_add_f64 v[29:30], v[18:19], -v[20:21]
	v_add_f64 v[2:3], v[2:3], -v[20:21]
	s_delay_alu instid0(VALU_DEP_3) | instskip(SKIP_1) | instid1(VALU_DEP_4)
	v_add_f64 v[10:11], v[10:11], v[24:25]
	v_add_f64 v[25:26], v[12:13], -v[18:19]
	v_add_f64 v[20:21], v[22:23], -v[29:30]
	s_delay_alu instid0(VALU_DEP_3) | instskip(NEXT) | instid1(VALU_DEP_3)
	v_add_f64 v[27:28], v[14:15], v[10:11]
	v_add_f64 v[31:32], v[12:13], -v[25:26]
	v_add_f64 v[0:1], v[0:1], -v[25:26]
	s_delay_alu instid0(VALU_DEP_4) | instskip(NEXT) | instid1(VALU_DEP_4)
	v_add_f64 v[2:3], v[2:3], v[20:21]
	v_cvt_i32_f64_e32 v27, v[27:28]
	s_delay_alu instid0(VALU_DEP_4) | instskip(NEXT) | instid1(VALU_DEP_2)
	v_add_f64 v[18:19], v[18:19], -v[31:32]
	v_cvt_f64_i32_e32 v[25:26], v27
	s_delay_alu instid0(VALU_DEP_2) | instskip(NEXT) | instid1(VALU_DEP_2)
	v_add_f64 v[0:1], v[0:1], v[18:19]
	v_add_f64 v[10:11], v[10:11], -v[25:26]
	s_delay_alu instid0(VALU_DEP_2) | instskip(NEXT) | instid1(VALU_DEP_2)
	v_add_f64 v[0:1], v[2:3], v[0:1]
	v_add_f64 v[2:3], v[14:15], v[10:11]
	s_delay_alu instid0(VALU_DEP_2) | instskip(NEXT) | instid1(VALU_DEP_2)
	v_add_f64 v[0:1], v[4:5], v[0:1]
	v_add_f64 v[4:5], v[2:3], -v[10:11]
	v_cmp_le_f64_e32 vcc_lo, 0.5, v[2:3]
	s_delay_alu instid0(VALU_DEP_3) | instskip(NEXT) | instid1(VALU_DEP_3)
	v_add_f64 v[0:1], v[8:9], v[0:1]
	v_add_f64 v[4:5], v[14:15], -v[4:5]
	v_cndmask_b32_e64 v25, 0, 0x3ff00000, vcc_lo
	v_add_co_ci_u32_e64 v8, s0, 0, v27, vcc_lo
	s_delay_alu instid0(VALU_DEP_2) | instskip(NEXT) | instid1(VALU_DEP_4)
	v_add_f64 v[2:3], v[2:3], -v[24:25]
	v_add_f64 v[0:1], v[0:1], v[4:5]
	s_delay_alu instid0(VALU_DEP_1) | instskip(NEXT) | instid1(VALU_DEP_1)
	v_add_f64 v[4:5], v[2:3], v[0:1]
	v_mul_f64 v[9:10], v[4:5], s[2:3]
	v_add_f64 v[2:3], v[4:5], -v[2:3]
	s_delay_alu instid0(VALU_DEP_2) | instskip(NEXT) | instid1(VALU_DEP_2)
	v_fma_f64 v[11:12], v[4:5], s[2:3], -v[9:10]
	v_add_f64 v[0:1], v[0:1], -v[2:3]
	s_delay_alu instid0(VALU_DEP_2) | instskip(NEXT) | instid1(VALU_DEP_1)
	v_fma_f64 v[2:3], v[4:5], s[4:5], v[11:12]
	v_fma_f64 v[2:3], v[0:1], s[2:3], v[2:3]
	s_delay_alu instid0(VALU_DEP_1) | instskip(NEXT) | instid1(VALU_DEP_1)
	v_add_f64 v[0:1], v[9:10], v[2:3]
	v_add_f64 v[4:5], v[0:1], -v[9:10]
	s_delay_alu instid0(VALU_DEP_1)
	v_add_f64 v[2:3], v[2:3], -v[4:5]
                                        ; implicit-def: $vgpr4_vgpr5
.LBB70_11:
	s_and_not1_saveexec_b32 s0, s1
	s_cbranch_execz .LBB70_13
; %bb.12:
	s_mov_b32 s2, 0x6dc9c883
	s_mov_b32 s3, 0x3fe45f30
	;; [unrolled: 1-line block ×3, first 2 shown]
	s_delay_alu instid0(VALU_DEP_1) | instskip(SKIP_3) | instid1(VALU_DEP_1)
	v_mul_f64 v[0:1], v[4:5], s[2:3]
	s_mov_b32 s2, 0x54442d18
	s_mov_b32 s3, 0xbff921fb
	;; [unrolled: 1-line block ×3, first 2 shown]
	v_rndne_f64_e32 v[8:9], v[0:1]
	s_delay_alu instid0(VALU_DEP_1) | instskip(SKIP_3) | instid1(VALU_DEP_2)
	v_fma_f64 v[0:1], v[8:9], s[2:3], v[4:5]
	v_mul_f64 v[2:3], v[8:9], s[4:5]
	s_mov_b32 s2, 0x252049c0
	s_mov_b32 s3, 0xb97b839a
	v_fma_f64 v[10:11], v[8:9], s[4:5], v[0:1]
	s_delay_alu instid0(VALU_DEP_2) | instskip(SKIP_1) | instid1(VALU_DEP_1)
	v_add_f64 v[4:5], v[0:1], v[2:3]
	s_mov_b32 s5, 0x3c91a626
	v_add_f64 v[0:1], v[0:1], -v[4:5]
	s_delay_alu instid0(VALU_DEP_3) | instskip(NEXT) | instid1(VALU_DEP_2)
	v_add_f64 v[4:5], v[4:5], -v[10:11]
	v_add_f64 v[0:1], v[0:1], v[2:3]
	v_fma_f64 v[2:3], v[8:9], s[4:5], v[2:3]
	s_delay_alu instid0(VALU_DEP_2) | instskip(NEXT) | instid1(VALU_DEP_1)
	v_add_f64 v[0:1], v[4:5], v[0:1]
	v_add_f64 v[0:1], v[0:1], -v[2:3]
	s_delay_alu instid0(VALU_DEP_1) | instskip(SKIP_1) | instid1(VALU_DEP_2)
	v_fma_f64 v[2:3], v[8:9], s[2:3], v[0:1]
	v_cvt_i32_f64_e32 v8, v[8:9]
	v_add_f64 v[0:1], v[10:11], v[2:3]
	s_delay_alu instid0(VALU_DEP_1) | instskip(NEXT) | instid1(VALU_DEP_1)
	v_add_f64 v[4:5], v[0:1], -v[10:11]
	v_add_f64 v[2:3], v[2:3], -v[4:5]
.LBB70_13:
	s_or_b32 exec_lo, exec_lo, s0
	v_mul_f64 v[4:5], v[0:1], v[0:1]
	s_mov_b32 s0, 0xb42fdfa7
	s_mov_b32 s2, 0xf9a43bb8
	;; [unrolled: 1-line block ×4, first 2 shown]
	s_delay_alu instid0(VALU_DEP_2) | instskip(NEXT) | instid1(VALU_DEP_2)
	v_mul_f64 v[17:18], v[2:3], 0.5
	v_fma_f64 v[9:10], v[4:5], s[2:3], s[0:1]
	s_mov_b32 s0, 0x796cde01
	s_mov_b32 s1, 0x3ec71de3
	;; [unrolled: 1-line block ×4, first 2 shown]
	v_mul_f64 v[13:14], v[4:5], 0.5
	v_mul_f64 v[19:20], v[0:1], -v[4:5]
	s_delay_alu instid0(VALU_DEP_3) | instskip(SKIP_2) | instid1(SALU_CYCLE_1)
	v_fma_f64 v[9:10], v[4:5], v[9:10], s[0:1]
	s_mov_b32 s0, 0x46cc5e42
	s_mov_b32 s1, 0xbda907db
	v_fma_f64 v[11:12], v[4:5], s[0:1], s[2:3]
	s_mov_b32 s0, 0x19e83e5c
	s_mov_b32 s1, 0xbf2a01a0
	s_delay_alu instid0(VALU_DEP_4) | instskip(NEXT) | instid1(VALU_DEP_3)
	v_add_f64 v[15:16], -v[13:14], 1.0
	v_fma_f64 v[9:10], v[4:5], v[9:10], s[0:1]
	s_mov_b32 s0, 0xa17f65f6
	s_mov_b32 s1, 0xbe927e4f
	s_delay_alu instid0(VALU_DEP_3) | instid1(SALU_CYCLE_1)
	v_fma_f64 v[11:12], v[4:5], v[11:12], s[0:1]
	s_mov_b32 s0, 0x11110bb3
	s_mov_b32 s1, 0x3f811111
	s_delay_alu instid0(VALU_DEP_3) | instskip(NEXT) | instid1(VALU_DEP_3)
	v_add_f64 v[21:22], -v[15:16], 1.0
	v_fma_f64 v[9:10], v[4:5], v[9:10], s[0:1]
	s_mov_b32 s0, 0x19f4ec90
	s_mov_b32 s1, 0x3efa01a0
	s_delay_alu instid0(VALU_DEP_3) | instid1(SALU_CYCLE_1)
	v_fma_f64 v[11:12], v[4:5], v[11:12], s[0:1]
	s_mov_b32 s0, 0x16c16967
	s_mov_b32 s1, 0xbf56c16c
	s_delay_alu instid0(VALU_DEP_3) | instskip(NEXT) | instid1(VALU_DEP_3)
	v_add_f64 v[13:14], v[21:22], -v[13:14]
	v_fma_f64 v[9:10], v[19:20], v[9:10], v[17:18]
	v_mul_f64 v[17:18], v[4:5], v[4:5]
	s_delay_alu instid0(VALU_DEP_4) | instskip(SKIP_2) | instid1(VALU_DEP_3)
	v_fma_f64 v[11:12], v[4:5], v[11:12], s[0:1]
	s_mov_b32 s1, 0x3fa55555
	s_mov_b32 s0, 0x55555555
	v_fma_f64 v[9:10], v[4:5], v[9:10], -v[2:3]
	v_fma_f64 v[2:3], v[0:1], -v[2:3], v[13:14]
	s_delay_alu instid0(VALU_DEP_3)
	v_fma_f64 v[4:5], v[4:5], v[11:12], s[0:1]
	s_mov_b32 s1, 0xbfc55555
	s_delay_alu instid0(VALU_DEP_3) | instid1(SALU_CYCLE_1)
	v_fma_f64 v[9:10], v[19:20], s[0:1], v[9:10]
	s_mov_b32 s0, 0
	s_mov_b32 s1, 0x7ff00000
	s_delay_alu instid0(VALU_DEP_2) | instskip(NEXT) | instid1(VALU_DEP_2)
	v_fma_f64 v[2:3], v[17:18], v[4:5], v[2:3]
	v_add_f64 v[0:1], v[0:1], -v[9:10]
	s_delay_alu instid0(VALU_DEP_2) | instskip(NEXT) | instid1(VALU_DEP_2)
	v_add_f64 v[2:3], v[15:16], v[2:3]
	v_xor_b32_e32 v1, 0x80000000, v1
	v_and_b32_e32 v4, 1, v8
	s_delay_alu instid0(VALU_DEP_1) | instskip(NEXT) | instid1(VALU_DEP_3)
	v_cmp_eq_u32_e32 vcc_lo, 0, v4
	v_dual_cndmask_b32 v1, v1, v3 :: v_dual_lshlrev_b32 v4, 30, v8
	v_cndmask_b32_e32 v0, v0, v2, vcc_lo
	s_delay_alu instid0(VALU_DEP_2) | instskip(NEXT) | instid1(VALU_DEP_1)
	v_and_b32_e32 v2, 0x80000000, v4
	v_xor_b32_e32 v3, v1, v2
	s_delay_alu instid0(VALU_DEP_1) | instskip(SKIP_2) | instid1(VALU_DEP_2)
	v_dual_mov_b32 v8, 0 :: v_dual_and_b32 v1, 0xfffff, v3
	v_lshrrev_b32_e32 v2, 24, v3
	v_and_b32_e32 v9, 0x7ff00000, v3
	v_and_b32_e32 v4, 0x80, v2
	s_delay_alu instid0(VALU_DEP_2) | instskip(SKIP_1) | instid1(VALU_DEP_2)
	v_cmp_ne_u64_e32 vcc_lo, s[0:1], v[8:9]
	s_mov_b32 s0, 1
	v_or_b32_e32 v5, 0x7e, v4
	s_and_saveexec_b32 s1, vcc_lo
	s_delay_alu instid0(SALU_CYCLE_1)
	s_xor_b32 s2, exec_lo, s1
	s_cbranch_execz .LBB70_27
; %bb.14:
	v_dual_mov_b32 v2, v0 :: v_dual_and_b32 v9, 0x7fffffff, v3
	v_mov_b32_e32 v8, v0
	s_mov_b32 s1, 0x407c0000
	s_delay_alu instid0(VALU_DEP_1) | instid1(SALU_CYCLE_1)
	v_cmp_gt_u64_e32 vcc_lo, s[0:1], v[8:9]
	s_and_saveexec_b32 s0, vcc_lo
	s_delay_alu instid0(SALU_CYCLE_1)
	s_xor_b32 s3, exec_lo, s0
	s_cbranch_execz .LBB70_26
; %bb.15:
	v_mov_b32_e32 v5, 0
	s_mov_b32 s4, exec_lo
	v_cmpx_ne_u64_e32 0, v[2:3]
	s_cbranch_execz .LBB70_25
; %bb.16:
	v_bfe_u32 v5, v3, 20, 11
	s_delay_alu instid0(VALU_DEP_1) | instskip(SKIP_1) | instid1(VALU_DEP_2)
	v_sub_nc_u32_e64 v2, 0x3f9, v5 clamp
	v_cmp_eq_u32_e32 vcc_lo, 0, v5
	v_cndmask_b32_e64 v8, v2, 0x3f8, vcc_lo
	v_or_b32_e32 v2, 0x100000, v1
	s_delay_alu instid0(VALU_DEP_2) | instskip(NEXT) | instid1(VALU_DEP_2)
	v_add_nc_u32_e32 v3, 49, v8
	v_cndmask_b32_e32 v1, v2, v1, vcc_lo
	v_add_nc_u32_e32 v11, 48, v8
	s_delay_alu instid0(VALU_DEP_3) | instskip(NEXT) | instid1(VALU_DEP_3)
	v_lshlrev_b64 v[2:3], v3, -1
	v_lshrrev_b64 v[9:10], v8, v[0:1]
	s_delay_alu instid0(VALU_DEP_3) | instskip(NEXT) | instid1(VALU_DEP_3)
	v_lshlrev_b64 v[11:12], v11, 1
	v_not_b32_e32 v13, v3
	s_delay_alu instid0(VALU_DEP_4) | instskip(NEXT) | instid1(VALU_DEP_4)
	v_not_b32_e32 v14, v2
	v_dual_mov_b32 v2, 0 :: v_dual_and_b32 v3, 0x20000, v10
	s_delay_alu instid0(VALU_DEP_2) | instskip(NEXT) | instid1(VALU_DEP_4)
	v_and_b32_e32 v0, v0, v14
	v_and_b32_e32 v1, v1, v13
	s_delay_alu instid0(VALU_DEP_3) | instskip(SKIP_1) | instid1(VALU_DEP_3)
	v_cmp_eq_u64_e64 s0, 0, v[2:3]
	v_lshrrev_b32_e32 v3, 20, v10
	v_cmp_eq_u64_e64 s1, v[0:1], v[11:12]
	v_add_nc_u32_e32 v0, 0xfffffc08, v5
	s_delay_alu instid0(VALU_DEP_1) | instskip(NEXT) | instid1(VALU_DEP_3)
	v_cndmask_b32_e64 v0, v0, 0xfffffc09, vcc_lo
	s_and_b32 s0, s0, s1
	s_delay_alu instid0(SALU_CYCLE_1) | instskip(SKIP_1) | instid1(VALU_DEP_2)
	v_cndmask_b32_e64 v1, 0, 1, s0
	s_mov_b32 s0, exec_lo
	v_add3_u32 v5, v0, v8, v3
	s_delay_alu instid0(VALU_DEP_2) | instskip(SKIP_1) | instid1(VALU_DEP_3)
	v_sub_co_u32 v1, vcc_lo, v9, v1
	v_subrev_co_ci_u32_e32 v11, vcc_lo, 0, v10, vcc_lo
	v_add_nc_u32_e32 v8, -1, v5
	s_delay_alu instid0(VALU_DEP_3) | instskip(NEXT) | instid1(VALU_DEP_3)
	v_add_co_u32 v0, vcc_lo, v1, v9
	v_and_b32_e32 v3, 0x1ffff, v11
	s_delay_alu instid0(VALU_DEP_1) | instskip(NEXT) | instid1(VALU_DEP_4)
	v_add_co_ci_u32_e32 v1, vcc_lo, v3, v10, vcc_lo
                                        ; implicit-def: $vgpr3
	v_cmpx_ne_u32_e32 0, v8
	s_xor_b32 s0, exec_lo, s0
; %bb.17:
	s_delay_alu instid0(VALU_DEP_2) | instskip(SKIP_1) | instid1(VALU_DEP_2)
	v_and_b32_e32 v3, 0x200000, v1
	v_bfe_u32 v9, v1, 21, 1
	v_cmp_eq_u64_e32 vcc_lo, 0, v[2:3]
	s_delay_alu instid0(VALU_DEP_2)
	v_lshrrev_b64 v[0:1], v9, v[0:1]
	v_cndmask_b32_e32 v3, v5, v8, vcc_lo
; %bb.18:
	s_and_not1_saveexec_b32 s0, s0
; %bb.19:
	s_delay_alu instid0(VALU_DEP_2)
	v_bfe_u32 v3, v1, 20, 1
; %bb.20:
	s_or_b32 exec_lo, exec_lo, s0
	v_lshrrev_b32_e32 v0, 17, v1
	s_delay_alu instid0(VALU_DEP_2) | instskip(SKIP_1) | instid1(VALU_DEP_3)
	v_cmp_gt_i32_e32 vcc_lo, 16, v3
	v_cmp_ne_u32_e64 s0, 0, v3
                                        ; implicit-def: $vgpr5
	v_dual_mov_b32 v1, 0 :: v_dual_cndmask_b32 v0, 7, v0
	s_delay_alu instid0(VALU_DEP_1) | instskip(NEXT) | instid1(VALU_DEP_3)
	v_cmp_ne_u64_e32 vcc_lo, 0, v[0:1]
	s_or_b32 s0, s0, vcc_lo
	s_delay_alu instid0(SALU_CYCLE_1) | instskip(NEXT) | instid1(SALU_CYCLE_1)
	s_and_saveexec_b32 s1, s0
	s_xor_b32 s0, exec_lo, s1
; %bb.21:
	v_min_i32_e32 v1, 15, v3
	s_delay_alu instid0(VALU_DEP_1) | instskip(NEXT) | instid1(VALU_DEP_1)
	v_lshl_or_b32 v1, v1, 3, v4
                                        ; implicit-def: $vgpr4
	v_and_or_b32 v5, v0, 7, v1
; %bb.22:
	s_and_not1_saveexec_b32 s0, s0
; %bb.23:
	v_mov_b32_e32 v5, v4
; %bb.24:
	s_or_b32 exec_lo, exec_lo, s0
.LBB70_25:
	s_delay_alu instid0(SALU_CYCLE_1)
	s_or_b32 exec_lo, exec_lo, s4
.LBB70_26:
	s_and_not1_saveexec_b32 s0, s3
	s_delay_alu instid0(SALU_CYCLE_1)
	s_or_b32 exec_lo, exec_lo, s0
                                        ; implicit-def: $vgpr0_vgpr1
                                        ; implicit-def: $vgpr2
.LBB70_27:
	s_and_not1_saveexec_b32 s0, s2
; %bb.28:
	v_cmp_eq_u64_e32 vcc_lo, 0, v[0:1]
	v_cndmask_b32_e32 v5, v2, v5, vcc_lo
; %bb.29:
	s_or_b32 exec_lo, exec_lo, s0
	v_add_co_u32 v0, vcc_lo, s16, v6
	v_add_co_ci_u32_e32 v1, vcc_lo, s17, v7, vcc_lo
	global_store_b8 v[0:1], v5, off
.LBB70_30:
	s_nop 0
	s_sendmsg sendmsg(MSG_DEALLOC_VGPRS)
	s_endpgm
	.section	.rodata,"a",@progbits
	.p2align	6, 0x0
	.amdhsa_kernel _Z11fill_kernelI12hipblaslt_f8Z21hipblaslt_init_deviceIS0_Ev8ABC_dims24hipblaslt_initializationbPT_mmmmmEUlmE3_EvS5_mmT0_
		.amdhsa_group_segment_fixed_size 0
		.amdhsa_private_segment_fixed_size 0
		.amdhsa_kernarg_size 312
		.amdhsa_user_sgpr_count 15
		.amdhsa_user_sgpr_dispatch_ptr 0
		.amdhsa_user_sgpr_queue_ptr 0
		.amdhsa_user_sgpr_kernarg_segment_ptr 1
		.amdhsa_user_sgpr_dispatch_id 0
		.amdhsa_user_sgpr_private_segment_size 0
		.amdhsa_wavefront_size32 1
		.amdhsa_uses_dynamic_stack 0
		.amdhsa_enable_private_segment 0
		.amdhsa_system_sgpr_workgroup_id_x 1
		.amdhsa_system_sgpr_workgroup_id_y 0
		.amdhsa_system_sgpr_workgroup_id_z 0
		.amdhsa_system_sgpr_workgroup_info 0
		.amdhsa_system_vgpr_workitem_id 0
		.amdhsa_next_free_vgpr 33
		.amdhsa_next_free_sgpr 20
		.amdhsa_reserve_vcc 1
		.amdhsa_float_round_mode_32 0
		.amdhsa_float_round_mode_16_64 0
		.amdhsa_float_denorm_mode_32 3
		.amdhsa_float_denorm_mode_16_64 3
		.amdhsa_dx10_clamp 1
		.amdhsa_ieee_mode 1
		.amdhsa_fp16_overflow 0
		.amdhsa_workgroup_processor_mode 1
		.amdhsa_memory_ordered 1
		.amdhsa_forward_progress 0
		.amdhsa_shared_vgpr_count 0
		.amdhsa_exception_fp_ieee_invalid_op 0
		.amdhsa_exception_fp_denorm_src 0
		.amdhsa_exception_fp_ieee_div_zero 0
		.amdhsa_exception_fp_ieee_overflow 0
		.amdhsa_exception_fp_ieee_underflow 0
		.amdhsa_exception_fp_ieee_inexact 0
		.amdhsa_exception_int_div_zero 0
	.end_amdhsa_kernel
	.section	.text._Z11fill_kernelI12hipblaslt_f8Z21hipblaslt_init_deviceIS0_Ev8ABC_dims24hipblaslt_initializationbPT_mmmmmEUlmE3_EvS5_mmT0_,"axG",@progbits,_Z11fill_kernelI12hipblaslt_f8Z21hipblaslt_init_deviceIS0_Ev8ABC_dims24hipblaslt_initializationbPT_mmmmmEUlmE3_EvS5_mmT0_,comdat
.Lfunc_end70:
	.size	_Z11fill_kernelI12hipblaslt_f8Z21hipblaslt_init_deviceIS0_Ev8ABC_dims24hipblaslt_initializationbPT_mmmmmEUlmE3_EvS5_mmT0_, .Lfunc_end70-_Z11fill_kernelI12hipblaslt_f8Z21hipblaslt_init_deviceIS0_Ev8ABC_dims24hipblaslt_initializationbPT_mmmmmEUlmE3_EvS5_mmT0_
                                        ; -- End function
	.section	.AMDGPU.csdata,"",@progbits
; Kernel info:
; codeLenInByte = 4168
; NumSgprs: 22
; NumVgprs: 33
; ScratchSize: 0
; MemoryBound: 0
; FloatMode: 240
; IeeeMode: 1
; LDSByteSize: 0 bytes/workgroup (compile time only)
; SGPRBlocks: 2
; VGPRBlocks: 4
; NumSGPRsForWavesPerEU: 22
; NumVGPRsForWavesPerEU: 33
; Occupancy: 16
; WaveLimiterHint : 0
; COMPUTE_PGM_RSRC2:SCRATCH_EN: 0
; COMPUTE_PGM_RSRC2:USER_SGPR: 15
; COMPUTE_PGM_RSRC2:TRAP_HANDLER: 0
; COMPUTE_PGM_RSRC2:TGID_X_EN: 1
; COMPUTE_PGM_RSRC2:TGID_Y_EN: 0
; COMPUTE_PGM_RSRC2:TGID_Z_EN: 0
; COMPUTE_PGM_RSRC2:TIDIG_COMP_CNT: 0
	.section	.text._Z11fill_kernelI12hipblaslt_f8Z21hipblaslt_init_deviceIS0_Ev8ABC_dims24hipblaslt_initializationbPT_mmmmmEUlmE4_EvS5_mmT0_,"axG",@progbits,_Z11fill_kernelI12hipblaslt_f8Z21hipblaslt_init_deviceIS0_Ev8ABC_dims24hipblaslt_initializationbPT_mmmmmEUlmE4_EvS5_mmT0_,comdat
	.protected	_Z11fill_kernelI12hipblaslt_f8Z21hipblaslt_init_deviceIS0_Ev8ABC_dims24hipblaslt_initializationbPT_mmmmmEUlmE4_EvS5_mmT0_ ; -- Begin function _Z11fill_kernelI12hipblaslt_f8Z21hipblaslt_init_deviceIS0_Ev8ABC_dims24hipblaslt_initializationbPT_mmmmmEUlmE4_EvS5_mmT0_
	.globl	_Z11fill_kernelI12hipblaslt_f8Z21hipblaslt_init_deviceIS0_Ev8ABC_dims24hipblaslt_initializationbPT_mmmmmEUlmE4_EvS5_mmT0_
	.p2align	8
	.type	_Z11fill_kernelI12hipblaslt_f8Z21hipblaslt_init_deviceIS0_Ev8ABC_dims24hipblaslt_initializationbPT_mmmmmEUlmE4_EvS5_mmT0_,@function
_Z11fill_kernelI12hipblaslt_f8Z21hipblaslt_init_deviceIS0_Ev8ABC_dims24hipblaslt_initializationbPT_mmmmmEUlmE4_EvS5_mmT0_: ; @_Z11fill_kernelI12hipblaslt_f8Z21hipblaslt_init_deviceIS0_Ev8ABC_dims24hipblaslt_initializationbPT_mmmmmEUlmE4_EvS5_mmT0_
; %bb.0:
	s_clause 0x1
	s_load_b32 s2, s[0:1], 0x2c
	s_load_b128 s[4:7], s[0:1], 0x0
	s_waitcnt lgkmcnt(0)
	s_and_b32 s2, s2, 0xffff
	s_delay_alu instid0(SALU_CYCLE_1) | instskip(SKIP_2) | instid1(VALU_DEP_1)
	v_mad_u64_u32 v[1:2], null, s15, s2, v[0:1]
	v_mov_b32_e32 v2, 0
	s_mov_b32 s2, exec_lo
	v_cmpx_gt_u64_e64 s[6:7], v[1:2]
	s_cbranch_execz .LBB71_18
; %bb.1:
	s_load_b64 s[0:1], s[0:1], 0x10
	s_mov_b32 s2, 0x19660d
	s_waitcnt lgkmcnt(0)
	v_add_co_u32 v5, s0, v1, s0
	s_delay_alu instid0(VALU_DEP_1) | instskip(SKIP_1) | instid1(VALU_DEP_2)
	v_add_co_ci_u32_e64 v6, null, 0, s1, s0
	s_mov_b32 s0, 0xffe00000
	v_mad_u64_u32 v[0:1], null, v5, s2, 0x3c6ef35f
	s_mov_b32 s1, 0x41efffff
	s_delay_alu instid0(VALU_DEP_1) | instskip(NEXT) | instid1(VALU_DEP_1)
	v_mad_u64_u32 v[3:4], null, 0x19660d, v6, v[1:2]
	v_mov_b32_e32 v1, v3
	s_delay_alu instid0(VALU_DEP_1) | instskip(NEXT) | instid1(VALU_DEP_1)
	v_lshlrev_b64 v[3:4], 13, v[0:1]
	v_xor_b32_e32 v1, v4, v1
	s_delay_alu instid0(VALU_DEP_2) | instskip(NEXT) | instid1(VALU_DEP_1)
	v_xor_b32_e32 v0, v3, v0
	v_lshrrev_b64 v[3:4], 17, v[0:1]
	s_delay_alu instid0(VALU_DEP_1) | instskip(NEXT) | instid1(VALU_DEP_2)
	v_xor_b32_e32 v1, v4, v1
	v_xor_b32_e32 v0, v3, v0
	s_delay_alu instid0(VALU_DEP_1) | instskip(NEXT) | instid1(VALU_DEP_1)
	v_lshlrev_b64 v[3:4], 5, v[0:1]
	v_xor_b32_e32 v1, v4, v1
	s_delay_alu instid0(VALU_DEP_2) | instskip(NEXT) | instid1(VALU_DEP_1)
	v_xor_b32_e32 v0, v3, v0
	v_lshlrev_b64 v[3:4], 13, v[0:1]
	s_delay_alu instid0(VALU_DEP_1) | instskip(NEXT) | instid1(VALU_DEP_2)
	v_xor_b32_e32 v1, v4, v1
	v_xor_b32_e32 v0, v3, v0
	s_delay_alu instid0(VALU_DEP_1) | instskip(NEXT) | instid1(VALU_DEP_1)
	v_lshrrev_b64 v[3:4], 17, v[0:1]
	v_xor_b32_e32 v1, v4, v1
	s_delay_alu instid0(VALU_DEP_2) | instskip(NEXT) | instid1(VALU_DEP_1)
	v_xor_b32_e32 v0, v3, v0
	v_lshlrev_b64 v[3:4], 5, v[0:1]
	s_delay_alu instid0(VALU_DEP_1) | instskip(NEXT) | instid1(VALU_DEP_2)
	v_xor_b32_e32 v1, v4, v1
	v_xor_b32_e32 v0, v3, v0
	s_delay_alu instid0(VALU_DEP_1) | instskip(NEXT) | instid1(VALU_DEP_1)
	v_lshlrev_b64 v[3:4], 13, v[0:1]
	v_xor_b32_e32 v1, v4, v1
	s_delay_alu instid0(VALU_DEP_2) | instskip(NEXT) | instid1(VALU_DEP_1)
	v_xor_b32_e32 v0, v3, v0
	v_alignbit_b32 v1, v1, v0, 17
	s_delay_alu instid0(VALU_DEP_1) | instskip(NEXT) | instid1(VALU_DEP_1)
	v_xor_b32_e32 v0, v1, v0
	v_lshlrev_b32_e32 v1, 5, v0
	s_delay_alu instid0(VALU_DEP_1) | instskip(NEXT) | instid1(VALU_DEP_1)
	v_xor_b32_e32 v0, v1, v0
	v_cvt_f64_u32_e32 v[0:1], v0
	s_delay_alu instid0(VALU_DEP_1) | instskip(NEXT) | instid1(VALU_DEP_1)
	v_div_scale_f64 v[3:4], null, s[0:1], s[0:1], v[0:1]
	v_rcp_f64_e32 v[7:8], v[3:4]
	s_waitcnt_depctr 0xfff
	v_fma_f64 v[9:10], -v[3:4], v[7:8], 1.0
	s_delay_alu instid0(VALU_DEP_1) | instskip(NEXT) | instid1(VALU_DEP_1)
	v_fma_f64 v[7:8], v[7:8], v[9:10], v[7:8]
	v_fma_f64 v[9:10], -v[3:4], v[7:8], 1.0
	s_delay_alu instid0(VALU_DEP_1) | instskip(SKIP_1) | instid1(VALU_DEP_1)
	v_fma_f64 v[7:8], v[7:8], v[9:10], v[7:8]
	v_div_scale_f64 v[9:10], vcc_lo, v[0:1], s[0:1], v[0:1]
	v_mul_f64 v[11:12], v[9:10], v[7:8]
	s_delay_alu instid0(VALU_DEP_1) | instskip(SKIP_1) | instid1(VALU_DEP_2)
	v_fma_f64 v[3:4], -v[3:4], v[11:12], v[9:10]
	v_mov_b32_e32 v9, v2
	v_div_fmas_f64 v[3:4], v[3:4], v[7:8], v[11:12]
	s_delay_alu instid0(VALU_DEP_1) | instskip(SKIP_2) | instid1(VALU_DEP_1)
	v_div_fixup_f64 v[0:1], v[3:4], s[0:1], v[0:1]
	s_mov_b32 s0, 0
	s_mov_b32 s1, 0x7ff00000
	v_add_f64 v[3:4], v[0:1], -0.5
	s_delay_alu instid0(VALU_DEP_1) | instskip(NEXT) | instid1(VALU_DEP_2)
	v_mov_b32_e32 v0, v3
	v_lshrrev_b32_e32 v8, 24, v4
	v_and_b32_e32 v10, 0x7ff00000, v4
	v_and_b32_e32 v1, 0xfffff, v4
	s_delay_alu instid0(VALU_DEP_3) | instskip(NEXT) | instid1(VALU_DEP_3)
	v_and_b32_e32 v7, 0x80, v8
	v_cmp_ne_u64_e32 vcc_lo, s[0:1], v[9:10]
	s_delay_alu instid0(VALU_DEP_2) | instskip(SKIP_1) | instid1(SALU_CYCLE_1)
	v_or_b32_e32 v2, 0x7e, v7
	s_and_saveexec_b32 s0, vcc_lo
	s_xor_b32 s2, exec_lo, s0
	s_cbranch_execz .LBB71_15
; %bb.2:
	v_dual_mov_b32 v8, v3 :: v_dual_and_b32 v9, 0x7fffffff, v4
	s_mov_b32 s0, 1
	s_mov_b32 s1, 0x407c0000
	s_delay_alu instid0(VALU_DEP_1) | instid1(SALU_CYCLE_1)
	v_cmp_gt_u64_e32 vcc_lo, s[0:1], v[8:9]
	s_and_saveexec_b32 s0, vcc_lo
	s_delay_alu instid0(SALU_CYCLE_1)
	s_xor_b32 s3, exec_lo, s0
	s_cbranch_execz .LBB71_14
; %bb.3:
	v_mov_b32_e32 v2, 0
	s_mov_b32 s6, exec_lo
	v_cmpx_ne_u64_e32 0, v[3:4]
	s_cbranch_execz .LBB71_13
; %bb.4:
	v_bfe_u32 v4, v4, 20, 11
	s_delay_alu instid0(VALU_DEP_1) | instskip(SKIP_1) | instid1(VALU_DEP_2)
	v_sub_nc_u32_e64 v2, 0x3f9, v4 clamp
	v_cmp_eq_u32_e32 vcc_lo, 0, v4
	v_cndmask_b32_e64 v8, v2, 0x3f8, vcc_lo
	v_or_b32_e32 v2, 0x100000, v1
	s_delay_alu instid0(VALU_DEP_2) | instskip(NEXT) | instid1(VALU_DEP_2)
	v_add_nc_u32_e32 v3, 49, v8
	v_cndmask_b32_e32 v1, v2, v1, vcc_lo
	v_add_nc_u32_e32 v11, 48, v8
	s_delay_alu instid0(VALU_DEP_3) | instskip(NEXT) | instid1(VALU_DEP_3)
	v_lshlrev_b64 v[2:3], v3, -1
	v_lshrrev_b64 v[9:10], v8, v[0:1]
	s_delay_alu instid0(VALU_DEP_3) | instskip(NEXT) | instid1(VALU_DEP_3)
	v_lshlrev_b64 v[11:12], v11, 1
	v_not_b32_e32 v13, v3
	s_delay_alu instid0(VALU_DEP_4) | instskip(NEXT) | instid1(VALU_DEP_4)
	v_not_b32_e32 v14, v2
	v_dual_mov_b32 v2, 0 :: v_dual_and_b32 v3, 0x20000, v10
	s_delay_alu instid0(VALU_DEP_2) | instskip(NEXT) | instid1(VALU_DEP_4)
	v_and_b32_e32 v0, v0, v14
	v_and_b32_e32 v1, v1, v13
	s_delay_alu instid0(VALU_DEP_3) | instskip(SKIP_1) | instid1(VALU_DEP_3)
	v_cmp_eq_u64_e64 s0, 0, v[2:3]
	v_lshrrev_b32_e32 v3, 20, v10
	v_cmp_eq_u64_e64 s1, v[0:1], v[11:12]
	v_add_nc_u32_e32 v0, 0xfffffc08, v4
	s_delay_alu instid0(VALU_DEP_1) | instskip(NEXT) | instid1(VALU_DEP_3)
	v_cndmask_b32_e64 v0, v0, 0xfffffc09, vcc_lo
	s_and_b32 s0, s0, s1
	s_delay_alu instid0(SALU_CYCLE_1) | instskip(SKIP_1) | instid1(VALU_DEP_2)
	v_cndmask_b32_e64 v1, 0, 1, s0
	s_mov_b32 s0, exec_lo
	v_add3_u32 v4, v0, v8, v3
	s_delay_alu instid0(VALU_DEP_2) | instskip(SKIP_1) | instid1(VALU_DEP_3)
	v_sub_co_u32 v1, vcc_lo, v9, v1
	v_subrev_co_ci_u32_e32 v11, vcc_lo, 0, v10, vcc_lo
	v_add_nc_u32_e32 v8, -1, v4
	s_delay_alu instid0(VALU_DEP_3) | instskip(NEXT) | instid1(VALU_DEP_3)
	v_add_co_u32 v0, vcc_lo, v1, v9
	v_and_b32_e32 v3, 0x1ffff, v11
	s_delay_alu instid0(VALU_DEP_1) | instskip(NEXT) | instid1(VALU_DEP_4)
	v_add_co_ci_u32_e32 v1, vcc_lo, v3, v10, vcc_lo
                                        ; implicit-def: $vgpr3
	v_cmpx_ne_u32_e32 0, v8
	s_xor_b32 s0, exec_lo, s0
; %bb.5:
	s_delay_alu instid0(VALU_DEP_2) | instskip(SKIP_1) | instid1(VALU_DEP_2)
	v_and_b32_e32 v3, 0x200000, v1
	v_bfe_u32 v9, v1, 21, 1
	v_cmp_eq_u64_e32 vcc_lo, 0, v[2:3]
	s_delay_alu instid0(VALU_DEP_2)
	v_lshrrev_b64 v[0:1], v9, v[0:1]
	v_cndmask_b32_e32 v3, v4, v8, vcc_lo
; %bb.6:
	s_and_not1_saveexec_b32 s0, s0
; %bb.7:
	s_delay_alu instid0(VALU_DEP_2)
	v_bfe_u32 v3, v1, 20, 1
; %bb.8:
	s_or_b32 exec_lo, exec_lo, s0
	v_lshrrev_b32_e32 v0, 17, v1
	s_delay_alu instid0(VALU_DEP_2) | instskip(SKIP_1) | instid1(VALU_DEP_3)
	v_cmp_gt_i32_e32 vcc_lo, 16, v3
	v_cmp_ne_u32_e64 s0, 0, v3
                                        ; implicit-def: $vgpr2
	v_dual_mov_b32 v1, 0 :: v_dual_cndmask_b32 v0, 7, v0
	s_delay_alu instid0(VALU_DEP_1) | instskip(NEXT) | instid1(VALU_DEP_3)
	v_cmp_ne_u64_e32 vcc_lo, 0, v[0:1]
	s_or_b32 s0, s0, vcc_lo
	s_delay_alu instid0(SALU_CYCLE_1) | instskip(NEXT) | instid1(SALU_CYCLE_1)
	s_and_saveexec_b32 s1, s0
	s_xor_b32 s0, exec_lo, s1
; %bb.9:
	v_min_i32_e32 v1, 15, v3
	s_delay_alu instid0(VALU_DEP_1) | instskip(NEXT) | instid1(VALU_DEP_1)
	v_lshl_or_b32 v1, v1, 3, v7
                                        ; implicit-def: $vgpr7
	v_and_or_b32 v2, v0, 7, v1
; %bb.10:
	s_and_not1_saveexec_b32 s0, s0
; %bb.11:
	v_mov_b32_e32 v2, v7
; %bb.12:
	s_or_b32 exec_lo, exec_lo, s0
.LBB71_13:
	s_delay_alu instid0(SALU_CYCLE_1)
	s_or_b32 exec_lo, exec_lo, s6
.LBB71_14:
	s_and_not1_saveexec_b32 s0, s3
	s_delay_alu instid0(SALU_CYCLE_1)
	s_or_b32 exec_lo, exec_lo, s0
                                        ; implicit-def: $vgpr0_vgpr1
                                        ; implicit-def: $vgpr8
.LBB71_15:
	s_and_not1_saveexec_b32 s0, s2
; %bb.16:
	v_cmp_eq_u64_e32 vcc_lo, 0, v[0:1]
	v_cndmask_b32_e32 v2, v8, v2, vcc_lo
; %bb.17:
	s_or_b32 exec_lo, exec_lo, s0
	v_add_co_u32 v0, vcc_lo, s4, v5
	v_add_co_ci_u32_e32 v1, vcc_lo, s5, v6, vcc_lo
	global_store_b8 v[0:1], v2, off
.LBB71_18:
	s_nop 0
	s_sendmsg sendmsg(MSG_DEALLOC_VGPRS)
	s_endpgm
	.section	.rodata,"a",@progbits
	.p2align	6, 0x0
	.amdhsa_kernel _Z11fill_kernelI12hipblaslt_f8Z21hipblaslt_init_deviceIS0_Ev8ABC_dims24hipblaslt_initializationbPT_mmmmmEUlmE4_EvS5_mmT0_
		.amdhsa_group_segment_fixed_size 0
		.amdhsa_private_segment_fixed_size 0
		.amdhsa_kernarg_size 288
		.amdhsa_user_sgpr_count 15
		.amdhsa_user_sgpr_dispatch_ptr 0
		.amdhsa_user_sgpr_queue_ptr 0
		.amdhsa_user_sgpr_kernarg_segment_ptr 1
		.amdhsa_user_sgpr_dispatch_id 0
		.amdhsa_user_sgpr_private_segment_size 0
		.amdhsa_wavefront_size32 1
		.amdhsa_uses_dynamic_stack 0
		.amdhsa_enable_private_segment 0
		.amdhsa_system_sgpr_workgroup_id_x 1
		.amdhsa_system_sgpr_workgroup_id_y 0
		.amdhsa_system_sgpr_workgroup_id_z 0
		.amdhsa_system_sgpr_workgroup_info 0
		.amdhsa_system_vgpr_workitem_id 0
		.amdhsa_next_free_vgpr 15
		.amdhsa_next_free_sgpr 16
		.amdhsa_reserve_vcc 1
		.amdhsa_float_round_mode_32 0
		.amdhsa_float_round_mode_16_64 0
		.amdhsa_float_denorm_mode_32 3
		.amdhsa_float_denorm_mode_16_64 3
		.amdhsa_dx10_clamp 1
		.amdhsa_ieee_mode 1
		.amdhsa_fp16_overflow 0
		.amdhsa_workgroup_processor_mode 1
		.amdhsa_memory_ordered 1
		.amdhsa_forward_progress 0
		.amdhsa_shared_vgpr_count 0
		.amdhsa_exception_fp_ieee_invalid_op 0
		.amdhsa_exception_fp_denorm_src 0
		.amdhsa_exception_fp_ieee_div_zero 0
		.amdhsa_exception_fp_ieee_overflow 0
		.amdhsa_exception_fp_ieee_underflow 0
		.amdhsa_exception_fp_ieee_inexact 0
		.amdhsa_exception_int_div_zero 0
	.end_amdhsa_kernel
	.section	.text._Z11fill_kernelI12hipblaslt_f8Z21hipblaslt_init_deviceIS0_Ev8ABC_dims24hipblaslt_initializationbPT_mmmmmEUlmE4_EvS5_mmT0_,"axG",@progbits,_Z11fill_kernelI12hipblaslt_f8Z21hipblaslt_init_deviceIS0_Ev8ABC_dims24hipblaslt_initializationbPT_mmmmmEUlmE4_EvS5_mmT0_,comdat
.Lfunc_end71:
	.size	_Z11fill_kernelI12hipblaslt_f8Z21hipblaslt_init_deviceIS0_Ev8ABC_dims24hipblaslt_initializationbPT_mmmmmEUlmE4_EvS5_mmT0_, .Lfunc_end71-_Z11fill_kernelI12hipblaslt_f8Z21hipblaslt_init_deviceIS0_Ev8ABC_dims24hipblaslt_initializationbPT_mmmmmEUlmE4_EvS5_mmT0_
                                        ; -- End function
	.section	.AMDGPU.csdata,"",@progbits
; Kernel info:
; codeLenInByte = 1084
; NumSgprs: 18
; NumVgprs: 15
; ScratchSize: 0
; MemoryBound: 0
; FloatMode: 240
; IeeeMode: 1
; LDSByteSize: 0 bytes/workgroup (compile time only)
; SGPRBlocks: 2
; VGPRBlocks: 1
; NumSGPRsForWavesPerEU: 18
; NumVGPRsForWavesPerEU: 15
; Occupancy: 16
; WaveLimiterHint : 0
; COMPUTE_PGM_RSRC2:SCRATCH_EN: 0
; COMPUTE_PGM_RSRC2:USER_SGPR: 15
; COMPUTE_PGM_RSRC2:TRAP_HANDLER: 0
; COMPUTE_PGM_RSRC2:TGID_X_EN: 1
; COMPUTE_PGM_RSRC2:TGID_Y_EN: 0
; COMPUTE_PGM_RSRC2:TGID_Z_EN: 0
; COMPUTE_PGM_RSRC2:TIDIG_COMP_CNT: 0
	.section	.text._Z11fill_kernelI12hipblaslt_f8Z21hipblaslt_init_deviceIS0_Ev8ABC_dims24hipblaslt_initializationbPT_mmmmmEUlmE5_EvS5_mmT0_,"axG",@progbits,_Z11fill_kernelI12hipblaslt_f8Z21hipblaslt_init_deviceIS0_Ev8ABC_dims24hipblaslt_initializationbPT_mmmmmEUlmE5_EvS5_mmT0_,comdat
	.protected	_Z11fill_kernelI12hipblaslt_f8Z21hipblaslt_init_deviceIS0_Ev8ABC_dims24hipblaslt_initializationbPT_mmmmmEUlmE5_EvS5_mmT0_ ; -- Begin function _Z11fill_kernelI12hipblaslt_f8Z21hipblaslt_init_deviceIS0_Ev8ABC_dims24hipblaslt_initializationbPT_mmmmmEUlmE5_EvS5_mmT0_
	.globl	_Z11fill_kernelI12hipblaslt_f8Z21hipblaslt_init_deviceIS0_Ev8ABC_dims24hipblaslt_initializationbPT_mmmmmEUlmE5_EvS5_mmT0_
	.p2align	8
	.type	_Z11fill_kernelI12hipblaslt_f8Z21hipblaslt_init_deviceIS0_Ev8ABC_dims24hipblaslt_initializationbPT_mmmmmEUlmE5_EvS5_mmT0_,@function
_Z11fill_kernelI12hipblaslt_f8Z21hipblaslt_init_deviceIS0_Ev8ABC_dims24hipblaslt_initializationbPT_mmmmmEUlmE5_EvS5_mmT0_: ; @_Z11fill_kernelI12hipblaslt_f8Z21hipblaslt_init_deviceIS0_Ev8ABC_dims24hipblaslt_initializationbPT_mmmmmEUlmE5_EvS5_mmT0_
; %bb.0:
	s_clause 0x1
	s_load_b32 s2, s[0:1], 0x2c
	s_load_b128 s[4:7], s[0:1], 0x0
	s_waitcnt lgkmcnt(0)
	s_and_b32 s2, s2, 0xffff
	s_delay_alu instid0(SALU_CYCLE_1) | instskip(SKIP_2) | instid1(VALU_DEP_1)
	v_mad_u64_u32 v[1:2], null, s15, s2, v[0:1]
	v_mov_b32_e32 v2, 0
	s_mov_b32 s2, exec_lo
	v_cmpx_gt_u64_e64 s[6:7], v[1:2]
	s_cbranch_execz .LBB72_2
; %bb.1:
	s_load_b64 s[0:1], s[0:1], 0x10
	v_mov_b32_e32 v2, 0x7e
	s_waitcnt lgkmcnt(0)
	s_add_u32 s0, s0, s4
	s_addc_u32 s1, s1, s5
	v_add_co_u32 v0, s0, s0, v1
	s_delay_alu instid0(VALU_DEP_1)
	v_add_co_ci_u32_e64 v1, null, s1, 0, s0
	global_store_b8 v[0:1], v2, off
.LBB72_2:
	s_nop 0
	s_sendmsg sendmsg(MSG_DEALLOC_VGPRS)
	s_endpgm
	.section	.rodata,"a",@progbits
	.p2align	6, 0x0
	.amdhsa_kernel _Z11fill_kernelI12hipblaslt_f8Z21hipblaslt_init_deviceIS0_Ev8ABC_dims24hipblaslt_initializationbPT_mmmmmEUlmE5_EvS5_mmT0_
		.amdhsa_group_segment_fixed_size 0
		.amdhsa_private_segment_fixed_size 0
		.amdhsa_kernarg_size 288
		.amdhsa_user_sgpr_count 15
		.amdhsa_user_sgpr_dispatch_ptr 0
		.amdhsa_user_sgpr_queue_ptr 0
		.amdhsa_user_sgpr_kernarg_segment_ptr 1
		.amdhsa_user_sgpr_dispatch_id 0
		.amdhsa_user_sgpr_private_segment_size 0
		.amdhsa_wavefront_size32 1
		.amdhsa_uses_dynamic_stack 0
		.amdhsa_enable_private_segment 0
		.amdhsa_system_sgpr_workgroup_id_x 1
		.amdhsa_system_sgpr_workgroup_id_y 0
		.amdhsa_system_sgpr_workgroup_id_z 0
		.amdhsa_system_sgpr_workgroup_info 0
		.amdhsa_system_vgpr_workitem_id 0
		.amdhsa_next_free_vgpr 3
		.amdhsa_next_free_sgpr 16
		.amdhsa_reserve_vcc 0
		.amdhsa_float_round_mode_32 0
		.amdhsa_float_round_mode_16_64 0
		.amdhsa_float_denorm_mode_32 3
		.amdhsa_float_denorm_mode_16_64 3
		.amdhsa_dx10_clamp 1
		.amdhsa_ieee_mode 1
		.amdhsa_fp16_overflow 0
		.amdhsa_workgroup_processor_mode 1
		.amdhsa_memory_ordered 1
		.amdhsa_forward_progress 0
		.amdhsa_shared_vgpr_count 0
		.amdhsa_exception_fp_ieee_invalid_op 0
		.amdhsa_exception_fp_denorm_src 0
		.amdhsa_exception_fp_ieee_div_zero 0
		.amdhsa_exception_fp_ieee_overflow 0
		.amdhsa_exception_fp_ieee_underflow 0
		.amdhsa_exception_fp_ieee_inexact 0
		.amdhsa_exception_int_div_zero 0
	.end_amdhsa_kernel
	.section	.text._Z11fill_kernelI12hipblaslt_f8Z21hipblaslt_init_deviceIS0_Ev8ABC_dims24hipblaslt_initializationbPT_mmmmmEUlmE5_EvS5_mmT0_,"axG",@progbits,_Z11fill_kernelI12hipblaslt_f8Z21hipblaslt_init_deviceIS0_Ev8ABC_dims24hipblaslt_initializationbPT_mmmmmEUlmE5_EvS5_mmT0_,comdat
.Lfunc_end72:
	.size	_Z11fill_kernelI12hipblaslt_f8Z21hipblaslt_init_deviceIS0_Ev8ABC_dims24hipblaslt_initializationbPT_mmmmmEUlmE5_EvS5_mmT0_, .Lfunc_end72-_Z11fill_kernelI12hipblaslt_f8Z21hipblaslt_init_deviceIS0_Ev8ABC_dims24hipblaslt_initializationbPT_mmmmmEUlmE5_EvS5_mmT0_
                                        ; -- End function
	.section	.AMDGPU.csdata,"",@progbits
; Kernel info:
; codeLenInByte = 132
; NumSgprs: 16
; NumVgprs: 3
; ScratchSize: 0
; MemoryBound: 0
; FloatMode: 240
; IeeeMode: 1
; LDSByteSize: 0 bytes/workgroup (compile time only)
; SGPRBlocks: 1
; VGPRBlocks: 0
; NumSGPRsForWavesPerEU: 16
; NumVGPRsForWavesPerEU: 3
; Occupancy: 16
; WaveLimiterHint : 0
; COMPUTE_PGM_RSRC2:SCRATCH_EN: 0
; COMPUTE_PGM_RSRC2:USER_SGPR: 15
; COMPUTE_PGM_RSRC2:TRAP_HANDLER: 0
; COMPUTE_PGM_RSRC2:TGID_X_EN: 1
; COMPUTE_PGM_RSRC2:TGID_Y_EN: 0
; COMPUTE_PGM_RSRC2:TGID_Z_EN: 0
; COMPUTE_PGM_RSRC2:TIDIG_COMP_CNT: 0
	.section	.text._Z11fill_kernelI12hipblaslt_f8Z21hipblaslt_init_deviceIS0_Ev8ABC_dims24hipblaslt_initializationbPT_mmmmmEUlmE6_EvS5_mmT0_,"axG",@progbits,_Z11fill_kernelI12hipblaslt_f8Z21hipblaslt_init_deviceIS0_Ev8ABC_dims24hipblaslt_initializationbPT_mmmmmEUlmE6_EvS5_mmT0_,comdat
	.protected	_Z11fill_kernelI12hipblaslt_f8Z21hipblaslt_init_deviceIS0_Ev8ABC_dims24hipblaslt_initializationbPT_mmmmmEUlmE6_EvS5_mmT0_ ; -- Begin function _Z11fill_kernelI12hipblaslt_f8Z21hipblaslt_init_deviceIS0_Ev8ABC_dims24hipblaslt_initializationbPT_mmmmmEUlmE6_EvS5_mmT0_
	.globl	_Z11fill_kernelI12hipblaslt_f8Z21hipblaslt_init_deviceIS0_Ev8ABC_dims24hipblaslt_initializationbPT_mmmmmEUlmE6_EvS5_mmT0_
	.p2align	8
	.type	_Z11fill_kernelI12hipblaslt_f8Z21hipblaslt_init_deviceIS0_Ev8ABC_dims24hipblaslt_initializationbPT_mmmmmEUlmE6_EvS5_mmT0_,@function
_Z11fill_kernelI12hipblaslt_f8Z21hipblaslt_init_deviceIS0_Ev8ABC_dims24hipblaslt_initializationbPT_mmmmmEUlmE6_EvS5_mmT0_: ; @_Z11fill_kernelI12hipblaslt_f8Z21hipblaslt_init_deviceIS0_Ev8ABC_dims24hipblaslt_initializationbPT_mmmmmEUlmE6_EvS5_mmT0_
; %bb.0:
	s_clause 0x1
	s_load_b32 s2, s[0:1], 0x2c
	s_load_b128 s[4:7], s[0:1], 0x0
	s_waitcnt lgkmcnt(0)
	s_and_b32 s2, s2, 0xffff
	s_delay_alu instid0(SALU_CYCLE_1) | instskip(SKIP_2) | instid1(VALU_DEP_1)
	v_mad_u64_u32 v[1:2], null, s15, s2, v[0:1]
	v_mov_b32_e32 v2, 0
	s_mov_b32 s2, exec_lo
	v_cmpx_gt_u64_e64 s[6:7], v[1:2]
	s_cbranch_execz .LBB73_2
; %bb.1:
	s_load_b64 s[0:1], s[0:1], 0x10
	s_waitcnt lgkmcnt(0)
	s_add_u32 s0, s0, s4
	s_addc_u32 s1, s1, s5
	v_add_co_u32 v0, s0, s0, v1
	s_delay_alu instid0(VALU_DEP_1)
	v_add_co_ci_u32_e64 v1, null, s1, 0, s0
	global_store_b8 v[0:1], v2, off
.LBB73_2:
	s_nop 0
	s_sendmsg sendmsg(MSG_DEALLOC_VGPRS)
	s_endpgm
	.section	.rodata,"a",@progbits
	.p2align	6, 0x0
	.amdhsa_kernel _Z11fill_kernelI12hipblaslt_f8Z21hipblaslt_init_deviceIS0_Ev8ABC_dims24hipblaslt_initializationbPT_mmmmmEUlmE6_EvS5_mmT0_
		.amdhsa_group_segment_fixed_size 0
		.amdhsa_private_segment_fixed_size 0
		.amdhsa_kernarg_size 288
		.amdhsa_user_sgpr_count 15
		.amdhsa_user_sgpr_dispatch_ptr 0
		.amdhsa_user_sgpr_queue_ptr 0
		.amdhsa_user_sgpr_kernarg_segment_ptr 1
		.amdhsa_user_sgpr_dispatch_id 0
		.amdhsa_user_sgpr_private_segment_size 0
		.amdhsa_wavefront_size32 1
		.amdhsa_uses_dynamic_stack 0
		.amdhsa_enable_private_segment 0
		.amdhsa_system_sgpr_workgroup_id_x 1
		.amdhsa_system_sgpr_workgroup_id_y 0
		.amdhsa_system_sgpr_workgroup_id_z 0
		.amdhsa_system_sgpr_workgroup_info 0
		.amdhsa_system_vgpr_workitem_id 0
		.amdhsa_next_free_vgpr 3
		.amdhsa_next_free_sgpr 16
		.amdhsa_reserve_vcc 0
		.amdhsa_float_round_mode_32 0
		.amdhsa_float_round_mode_16_64 0
		.amdhsa_float_denorm_mode_32 3
		.amdhsa_float_denorm_mode_16_64 3
		.amdhsa_dx10_clamp 1
		.amdhsa_ieee_mode 1
		.amdhsa_fp16_overflow 0
		.amdhsa_workgroup_processor_mode 1
		.amdhsa_memory_ordered 1
		.amdhsa_forward_progress 0
		.amdhsa_shared_vgpr_count 0
		.amdhsa_exception_fp_ieee_invalid_op 0
		.amdhsa_exception_fp_denorm_src 0
		.amdhsa_exception_fp_ieee_div_zero 0
		.amdhsa_exception_fp_ieee_overflow 0
		.amdhsa_exception_fp_ieee_underflow 0
		.amdhsa_exception_fp_ieee_inexact 0
		.amdhsa_exception_int_div_zero 0
	.end_amdhsa_kernel
	.section	.text._Z11fill_kernelI12hipblaslt_f8Z21hipblaslt_init_deviceIS0_Ev8ABC_dims24hipblaslt_initializationbPT_mmmmmEUlmE6_EvS5_mmT0_,"axG",@progbits,_Z11fill_kernelI12hipblaslt_f8Z21hipblaslt_init_deviceIS0_Ev8ABC_dims24hipblaslt_initializationbPT_mmmmmEUlmE6_EvS5_mmT0_,comdat
.Lfunc_end73:
	.size	_Z11fill_kernelI12hipblaslt_f8Z21hipblaslt_init_deviceIS0_Ev8ABC_dims24hipblaslt_initializationbPT_mmmmmEUlmE6_EvS5_mmT0_, .Lfunc_end73-_Z11fill_kernelI12hipblaslt_f8Z21hipblaslt_init_deviceIS0_Ev8ABC_dims24hipblaslt_initializationbPT_mmmmmEUlmE6_EvS5_mmT0_
                                        ; -- End function
	.section	.AMDGPU.csdata,"",@progbits
; Kernel info:
; codeLenInByte = 124
; NumSgprs: 16
; NumVgprs: 3
; ScratchSize: 0
; MemoryBound: 0
; FloatMode: 240
; IeeeMode: 1
; LDSByteSize: 0 bytes/workgroup (compile time only)
; SGPRBlocks: 1
; VGPRBlocks: 0
; NumSGPRsForWavesPerEU: 16
; NumVGPRsForWavesPerEU: 3
; Occupancy: 16
; WaveLimiterHint : 0
; COMPUTE_PGM_RSRC2:SCRATCH_EN: 0
; COMPUTE_PGM_RSRC2:USER_SGPR: 15
; COMPUTE_PGM_RSRC2:TRAP_HANDLER: 0
; COMPUTE_PGM_RSRC2:TGID_X_EN: 1
; COMPUTE_PGM_RSRC2:TGID_Y_EN: 0
; COMPUTE_PGM_RSRC2:TGID_Z_EN: 0
; COMPUTE_PGM_RSRC2:TIDIG_COMP_CNT: 0
	.section	.text._Z11fill_kernelI12hipblaslt_f8Z21hipblaslt_init_deviceIS0_Ev8ABC_dims24hipblaslt_initializationbPT_mmmmmEUlmE7_EvS5_mmT0_,"axG",@progbits,_Z11fill_kernelI12hipblaslt_f8Z21hipblaslt_init_deviceIS0_Ev8ABC_dims24hipblaslt_initializationbPT_mmmmmEUlmE7_EvS5_mmT0_,comdat
	.protected	_Z11fill_kernelI12hipblaslt_f8Z21hipblaslt_init_deviceIS0_Ev8ABC_dims24hipblaslt_initializationbPT_mmmmmEUlmE7_EvS5_mmT0_ ; -- Begin function _Z11fill_kernelI12hipblaslt_f8Z21hipblaslt_init_deviceIS0_Ev8ABC_dims24hipblaslt_initializationbPT_mmmmmEUlmE7_EvS5_mmT0_
	.globl	_Z11fill_kernelI12hipblaslt_f8Z21hipblaslt_init_deviceIS0_Ev8ABC_dims24hipblaslt_initializationbPT_mmmmmEUlmE7_EvS5_mmT0_
	.p2align	8
	.type	_Z11fill_kernelI12hipblaslt_f8Z21hipblaslt_init_deviceIS0_Ev8ABC_dims24hipblaslt_initializationbPT_mmmmmEUlmE7_EvS5_mmT0_,@function
_Z11fill_kernelI12hipblaslt_f8Z21hipblaslt_init_deviceIS0_Ev8ABC_dims24hipblaslt_initializationbPT_mmmmmEUlmE7_EvS5_mmT0_: ; @_Z11fill_kernelI12hipblaslt_f8Z21hipblaslt_init_deviceIS0_Ev8ABC_dims24hipblaslt_initializationbPT_mmmmmEUlmE7_EvS5_mmT0_
; %bb.0:
	s_clause 0x1
	s_load_b32 s2, s[0:1], 0x2c
	s_load_b128 s[4:7], s[0:1], 0x0
	s_waitcnt lgkmcnt(0)
	s_and_b32 s2, s2, 0xffff
	s_delay_alu instid0(SALU_CYCLE_1) | instskip(SKIP_2) | instid1(VALU_DEP_1)
	v_mad_u64_u32 v[1:2], null, s15, s2, v[0:1]
	v_mov_b32_e32 v2, 0
	s_mov_b32 s2, exec_lo
	v_cmpx_gt_u64_e64 s[6:7], v[1:2]
	s_cbranch_execz .LBB74_14
; %bb.1:
	s_load_b64 s[0:1], s[0:1], 0x10
	s_mov_b32 s2, 0x19660d
	s_waitcnt lgkmcnt(0)
	v_add_co_u32 v4, s0, v1, s0
	s_delay_alu instid0(VALU_DEP_1) | instskip(NEXT) | instid1(VALU_DEP_2)
	v_add_co_ci_u32_e64 v5, null, 0, s1, s0
	v_mad_u64_u32 v[0:1], null, v4, s2, 0x3c6ef35f
	s_delay_alu instid0(VALU_DEP_1) | instskip(NEXT) | instid1(VALU_DEP_1)
	v_mad_u64_u32 v[6:7], null, 0x19660d, v5, v[1:2]
	v_mov_b32_e32 v1, v6
	s_delay_alu instid0(VALU_DEP_1) | instskip(NEXT) | instid1(VALU_DEP_1)
	v_lshlrev_b64 v[6:7], 13, v[0:1]
	v_xor_b32_e32 v1, v7, v1
	s_delay_alu instid0(VALU_DEP_2) | instskip(NEXT) | instid1(VALU_DEP_1)
	v_xor_b32_e32 v0, v6, v0
	v_lshrrev_b64 v[6:7], 17, v[0:1]
	s_delay_alu instid0(VALU_DEP_1) | instskip(NEXT) | instid1(VALU_DEP_2)
	v_xor_b32_e32 v1, v7, v1
	v_xor_b32_e32 v0, v6, v0
	s_delay_alu instid0(VALU_DEP_1) | instskip(NEXT) | instid1(VALU_DEP_1)
	v_lshlrev_b64 v[6:7], 5, v[0:1]
	v_xor_b32_e32 v1, v7, v1
	s_delay_alu instid0(VALU_DEP_2) | instskip(NEXT) | instid1(VALU_DEP_1)
	v_xor_b32_e32 v0, v6, v0
	v_lshlrev_b64 v[6:7], 13, v[0:1]
	s_delay_alu instid0(VALU_DEP_1) | instskip(NEXT) | instid1(VALU_DEP_2)
	v_xor_b32_e32 v1, v7, v1
	v_xor_b32_e32 v0, v6, v0
	s_delay_alu instid0(VALU_DEP_1) | instskip(NEXT) | instid1(VALU_DEP_1)
	v_lshrrev_b64 v[6:7], 17, v[0:1]
	v_xor_b32_e32 v1, v7, v1
	s_delay_alu instid0(VALU_DEP_2) | instskip(NEXT) | instid1(VALU_DEP_1)
	v_xor_b32_e32 v0, v6, v0
	v_lshlrev_b64 v[6:7], 5, v[0:1]
	s_delay_alu instid0(VALU_DEP_1) | instskip(NEXT) | instid1(VALU_DEP_2)
	v_xor_b32_e32 v1, v7, v1
	v_xor_b32_e32 v0, v6, v0
	s_delay_alu instid0(VALU_DEP_1) | instskip(NEXT) | instid1(VALU_DEP_1)
	v_lshlrev_b64 v[6:7], 13, v[0:1]
	v_xor_b32_e32 v1, v7, v1
	s_delay_alu instid0(VALU_DEP_2) | instskip(NEXT) | instid1(VALU_DEP_1)
	v_xor_b32_e32 v0, v6, v0
	v_alignbit_b32 v1, v1, v0, 17
	s_delay_alu instid0(VALU_DEP_1) | instskip(NEXT) | instid1(VALU_DEP_1)
	v_xor_b32_e32 v0, v1, v0
	v_lshlrev_b32_e32 v1, 5, v0
	s_delay_alu instid0(VALU_DEP_1) | instskip(NEXT) | instid1(VALU_DEP_1)
	v_xor_b32_e32 v0, v1, v0
	v_mul_hi_u32 v1, 0xcccccccd, v0
	s_delay_alu instid0(VALU_DEP_1) | instskip(NEXT) | instid1(VALU_DEP_1)
	v_lshrrev_b32_e32 v1, 3, v1
	v_mul_lo_u32 v1, v1, 10
	s_delay_alu instid0(VALU_DEP_1) | instskip(NEXT) | instid1(VALU_DEP_1)
	v_sub_nc_u32_e32 v0, v0, v1
	v_add_nc_u32_e32 v0, 1, v0
	s_delay_alu instid0(VALU_DEP_1) | instskip(NEXT) | instid1(VALU_DEP_1)
	v_cvt_f32_u32_e32 v0, v0
	v_and_b32_e32 v3, 0x7f800000, v0
	v_and_b32_e32 v1, 0x7fffff, v0
	s_delay_alu instid0(VALU_DEP_2) | instskip(SKIP_1) | instid1(SALU_CYCLE_1)
	v_cmp_ne_u32_e32 vcc_lo, 0x7f800000, v3
                                        ; implicit-def: $vgpr3
	s_and_saveexec_b32 s0, vcc_lo
	s_xor_b32 s2, exec_lo, s0
	s_cbranch_execz .LBB74_11
; %bb.2:
	v_mov_b32_e32 v3, 0x7e
	s_mov_b32 s3, exec_lo
	v_cmpx_gt_u32_e32 0x43e00001, v0
	s_cbranch_execz .LBB74_10
; %bb.3:
	v_lshrrev_b32_e32 v12, 23, v0
	v_cmp_gt_u32_e32 vcc_lo, 0x800000, v0
	s_delay_alu instid0(VALU_DEP_2) | instskip(NEXT) | instid1(VALU_DEP_1)
	v_sub_nc_u32_e64 v3, 0x79, v12 clamp
	v_cndmask_b32_e64 v0, v3, 0x78, vcc_lo
	v_or_b32_e32 v3, 0x800000, v1
	s_delay_alu instid0(VALU_DEP_1) | instskip(SKIP_1) | instid1(VALU_DEP_2)
	v_dual_cndmask_b32 v1, v3, v1 :: v_dual_add_nc_u32 v6, 20, v0
	v_dual_mov_b32 v3, 0 :: v_dual_add_nc_u32 v10, 19, v0
	v_lshlrev_b64 v[6:7], v6, -1
	s_delay_alu instid0(VALU_DEP_3) | instskip(NEXT) | instid1(VALU_DEP_2)
	v_lshrrev_b64 v[8:9], v0, v[1:2]
	v_not_b32_e32 v11, v7
	s_delay_alu instid0(VALU_DEP_3) | instskip(SKIP_1) | instid1(VALU_DEP_4)
	v_not_b32_e32 v13, v6
	v_lshlrev_b64 v[6:7], v10, 1
	v_and_b32_e32 v2, 0x100000, v8
	s_delay_alu instid0(VALU_DEP_4) | instskip(NEXT) | instid1(VALU_DEP_4)
	v_and_b32_e32 v11, 0, v11
	v_and_b32_e32 v10, v1, v13
	v_add_nc_u32_e32 v1, 0xffffff88, v12
	s_delay_alu instid0(VALU_DEP_4) | instskip(SKIP_1) | instid1(VALU_DEP_4)
	v_cmp_eq_u64_e64 s0, 0, v[2:3]
	v_lshrrev_b32_e32 v2, 23, v8
	v_cmp_eq_u64_e64 s1, v[10:11], v[6:7]
	s_delay_alu instid0(VALU_DEP_4) | instskip(NEXT) | instid1(VALU_DEP_1)
	v_cndmask_b32_e64 v1, v1, 0xffffff89, vcc_lo
	v_add3_u32 v6, v1, v0, v2
	s_delay_alu instid0(VALU_DEP_3) | instskip(SKIP_2) | instid1(VALU_DEP_1)
	s_and_b32 vcc_lo, s0, s1
	s_mov_b32 s0, exec_lo
	v_subrev_co_ci_u32_e32 v7, vcc_lo, 0, v8, vcc_lo
                                        ; implicit-def: $vgpr2
	v_and_b32_e32 v0, 0xfffff, v7
	v_add_nc_u32_e32 v7, -1, v6
	s_delay_alu instid0(VALU_DEP_2) | instskip(SKIP_1) | instid1(VALU_DEP_3)
	v_add_co_u32 v0, vcc_lo, v0, v8
	v_add_co_ci_u32_e32 v1, vcc_lo, 0, v9, vcc_lo
	v_cmpx_ne_u32_e32 0, v7
	s_xor_b32 s0, exec_lo, s0
; %bb.4:
	s_delay_alu instid0(VALU_DEP_3) | instskip(SKIP_1) | instid1(VALU_DEP_2)
	v_and_b32_e32 v2, 0x1000000, v0
	v_bfe_u32 v8, v0, 24, 1
	v_cmp_eq_u64_e32 vcc_lo, 0, v[2:3]
	s_delay_alu instid0(VALU_DEP_2)
	v_lshrrev_b64 v[0:1], v8, v[0:1]
	v_cndmask_b32_e32 v2, v6, v7, vcc_lo
; %bb.5:
	s_and_not1_saveexec_b32 s0, s0
; %bb.6:
	s_delay_alu instid0(VALU_DEP_2)
	v_bfe_u32 v2, v0, 23, 1
; %bb.7:
	s_or_b32 exec_lo, exec_lo, s0
	s_delay_alu instid0(VALU_DEP_3) | instskip(NEXT) | instid1(VALU_DEP_2)
	v_lshrrev_b64 v[0:1], 20, v[0:1]
	v_cmp_gt_i32_e32 vcc_lo, 16, v2
	v_cmp_ne_u32_e64 s0, 0, v2
	v_mov_b32_e32 v3, 0
	s_delay_alu instid0(VALU_DEP_4) | instskip(NEXT) | instid1(VALU_DEP_1)
	v_dual_cndmask_b32 v1, 0, v1 :: v_dual_cndmask_b32 v0, 7, v0
	v_cmp_ne_u64_e32 vcc_lo, 0, v[0:1]
	s_delay_alu instid0(VALU_DEP_4) | instskip(NEXT) | instid1(SALU_CYCLE_1)
	s_or_b32 s1, s0, vcc_lo
	s_and_saveexec_b32 s0, s1
; %bb.8:
	v_min_i32_e32 v1, 15, v2
	s_delay_alu instid0(VALU_DEP_1) | instskip(NEXT) | instid1(VALU_DEP_1)
	v_lshlrev_b32_e32 v1, 3, v1
	v_and_or_b32 v3, v0, 7, v1
; %bb.9:
	s_or_b32 exec_lo, exec_lo, s0
.LBB74_10:
	s_delay_alu instid0(SALU_CYCLE_1)
	s_or_b32 exec_lo, exec_lo, s3
                                        ; implicit-def: $vgpr1_vgpr2
.LBB74_11:
	s_and_not1_saveexec_b32 s0, s2
; %bb.12:
	v_cmp_eq_u64_e32 vcc_lo, 0, v[1:2]
	v_mov_b32_e32 v0, 0x7e
	s_delay_alu instid0(VALU_DEP_1)
	v_cndmask_b32_e32 v3, 0x7f, v0, vcc_lo
; %bb.13:
	s_or_b32 exec_lo, exec_lo, s0
	v_add_co_u32 v0, vcc_lo, s4, v4
	v_add_co_ci_u32_e32 v1, vcc_lo, s5, v5, vcc_lo
	global_store_b8 v[0:1], v3, off
.LBB74_14:
	s_nop 0
	s_sendmsg sendmsg(MSG_DEALLOC_VGPRS)
	s_endpgm
	.section	.rodata,"a",@progbits
	.p2align	6, 0x0
	.amdhsa_kernel _Z11fill_kernelI12hipblaslt_f8Z21hipblaslt_init_deviceIS0_Ev8ABC_dims24hipblaslt_initializationbPT_mmmmmEUlmE7_EvS5_mmT0_
		.amdhsa_group_segment_fixed_size 0
		.amdhsa_private_segment_fixed_size 0
		.amdhsa_kernarg_size 288
		.amdhsa_user_sgpr_count 15
		.amdhsa_user_sgpr_dispatch_ptr 0
		.amdhsa_user_sgpr_queue_ptr 0
		.amdhsa_user_sgpr_kernarg_segment_ptr 1
		.amdhsa_user_sgpr_dispatch_id 0
		.amdhsa_user_sgpr_private_segment_size 0
		.amdhsa_wavefront_size32 1
		.amdhsa_uses_dynamic_stack 0
		.amdhsa_enable_private_segment 0
		.amdhsa_system_sgpr_workgroup_id_x 1
		.amdhsa_system_sgpr_workgroup_id_y 0
		.amdhsa_system_sgpr_workgroup_id_z 0
		.amdhsa_system_sgpr_workgroup_info 0
		.amdhsa_system_vgpr_workitem_id 0
		.amdhsa_next_free_vgpr 14
		.amdhsa_next_free_sgpr 16
		.amdhsa_reserve_vcc 1
		.amdhsa_float_round_mode_32 0
		.amdhsa_float_round_mode_16_64 0
		.amdhsa_float_denorm_mode_32 3
		.amdhsa_float_denorm_mode_16_64 3
		.amdhsa_dx10_clamp 1
		.amdhsa_ieee_mode 1
		.amdhsa_fp16_overflow 0
		.amdhsa_workgroup_processor_mode 1
		.amdhsa_memory_ordered 1
		.amdhsa_forward_progress 0
		.amdhsa_shared_vgpr_count 0
		.amdhsa_exception_fp_ieee_invalid_op 0
		.amdhsa_exception_fp_denorm_src 0
		.amdhsa_exception_fp_ieee_div_zero 0
		.amdhsa_exception_fp_ieee_overflow 0
		.amdhsa_exception_fp_ieee_underflow 0
		.amdhsa_exception_fp_ieee_inexact 0
		.amdhsa_exception_int_div_zero 0
	.end_amdhsa_kernel
	.section	.text._Z11fill_kernelI12hipblaslt_f8Z21hipblaslt_init_deviceIS0_Ev8ABC_dims24hipblaslt_initializationbPT_mmmmmEUlmE7_EvS5_mmT0_,"axG",@progbits,_Z11fill_kernelI12hipblaslt_f8Z21hipblaslt_init_deviceIS0_Ev8ABC_dims24hipblaslt_initializationbPT_mmmmmEUlmE7_EvS5_mmT0_,comdat
.Lfunc_end74:
	.size	_Z11fill_kernelI12hipblaslt_f8Z21hipblaslt_init_deviceIS0_Ev8ABC_dims24hipblaslt_initializationbPT_mmmmmEUlmE7_EvS5_mmT0_, .Lfunc_end74-_Z11fill_kernelI12hipblaslt_f8Z21hipblaslt_init_deviceIS0_Ev8ABC_dims24hipblaslt_initializationbPT_mmmmmEUlmE7_EvS5_mmT0_
                                        ; -- End function
	.section	.AMDGPU.csdata,"",@progbits
; Kernel info:
; codeLenInByte = 880
; NumSgprs: 18
; NumVgprs: 14
; ScratchSize: 0
; MemoryBound: 0
; FloatMode: 240
; IeeeMode: 1
; LDSByteSize: 0 bytes/workgroup (compile time only)
; SGPRBlocks: 2
; VGPRBlocks: 1
; NumSGPRsForWavesPerEU: 18
; NumVGPRsForWavesPerEU: 14
; Occupancy: 16
; WaveLimiterHint : 0
; COMPUTE_PGM_RSRC2:SCRATCH_EN: 0
; COMPUTE_PGM_RSRC2:USER_SGPR: 15
; COMPUTE_PGM_RSRC2:TRAP_HANDLER: 0
; COMPUTE_PGM_RSRC2:TGID_X_EN: 1
; COMPUTE_PGM_RSRC2:TGID_Y_EN: 0
; COMPUTE_PGM_RSRC2:TGID_Z_EN: 0
; COMPUTE_PGM_RSRC2:TIDIG_COMP_CNT: 0
	.section	.text._Z11fill_kernelI12hipblaslt_f8Z21hipblaslt_init_deviceIS0_Ev8ABC_dims24hipblaslt_initializationbPT_mmmmmEUlmE8_EvS5_mmT0_,"axG",@progbits,_Z11fill_kernelI12hipblaslt_f8Z21hipblaslt_init_deviceIS0_Ev8ABC_dims24hipblaslt_initializationbPT_mmmmmEUlmE8_EvS5_mmT0_,comdat
	.protected	_Z11fill_kernelI12hipblaslt_f8Z21hipblaslt_init_deviceIS0_Ev8ABC_dims24hipblaslt_initializationbPT_mmmmmEUlmE8_EvS5_mmT0_ ; -- Begin function _Z11fill_kernelI12hipblaslt_f8Z21hipblaslt_init_deviceIS0_Ev8ABC_dims24hipblaslt_initializationbPT_mmmmmEUlmE8_EvS5_mmT0_
	.globl	_Z11fill_kernelI12hipblaslt_f8Z21hipblaslt_init_deviceIS0_Ev8ABC_dims24hipblaslt_initializationbPT_mmmmmEUlmE8_EvS5_mmT0_
	.p2align	8
	.type	_Z11fill_kernelI12hipblaslt_f8Z21hipblaslt_init_deviceIS0_Ev8ABC_dims24hipblaslt_initializationbPT_mmmmmEUlmE8_EvS5_mmT0_,@function
_Z11fill_kernelI12hipblaslt_f8Z21hipblaslt_init_deviceIS0_Ev8ABC_dims24hipblaslt_initializationbPT_mmmmmEUlmE8_EvS5_mmT0_: ; @_Z11fill_kernelI12hipblaslt_f8Z21hipblaslt_init_deviceIS0_Ev8ABC_dims24hipblaslt_initializationbPT_mmmmmEUlmE8_EvS5_mmT0_
; %bb.0:
	s_clause 0x1
	s_load_b32 s2, s[0:1], 0x2c
	s_load_b128 s[4:7], s[0:1], 0x0
	s_waitcnt lgkmcnt(0)
	s_and_b32 s2, s2, 0xffff
	s_delay_alu instid0(SALU_CYCLE_1) | instskip(SKIP_2) | instid1(VALU_DEP_1)
	v_mad_u64_u32 v[1:2], null, s15, s2, v[0:1]
	v_mov_b32_e32 v2, 0
	s_mov_b32 s2, exec_lo
	v_cmpx_gt_u64_e64 s[6:7], v[1:2]
	s_cbranch_execz .LBB75_2
; %bb.1:
	s_load_b64 s[0:1], s[0:1], 0x10
	s_waitcnt lgkmcnt(0)
	s_add_u32 s0, s0, s4
	s_addc_u32 s1, s1, s5
	v_add_co_u32 v0, s0, s0, v1
	s_delay_alu instid0(VALU_DEP_1)
	v_add_co_ci_u32_e64 v1, null, s1, 0, s0
	global_store_b8 v[0:1], v2, off
.LBB75_2:
	s_nop 0
	s_sendmsg sendmsg(MSG_DEALLOC_VGPRS)
	s_endpgm
	.section	.rodata,"a",@progbits
	.p2align	6, 0x0
	.amdhsa_kernel _Z11fill_kernelI12hipblaslt_f8Z21hipblaslt_init_deviceIS0_Ev8ABC_dims24hipblaslt_initializationbPT_mmmmmEUlmE8_EvS5_mmT0_
		.amdhsa_group_segment_fixed_size 0
		.amdhsa_private_segment_fixed_size 0
		.amdhsa_kernarg_size 288
		.amdhsa_user_sgpr_count 15
		.amdhsa_user_sgpr_dispatch_ptr 0
		.amdhsa_user_sgpr_queue_ptr 0
		.amdhsa_user_sgpr_kernarg_segment_ptr 1
		.amdhsa_user_sgpr_dispatch_id 0
		.amdhsa_user_sgpr_private_segment_size 0
		.amdhsa_wavefront_size32 1
		.amdhsa_uses_dynamic_stack 0
		.amdhsa_enable_private_segment 0
		.amdhsa_system_sgpr_workgroup_id_x 1
		.amdhsa_system_sgpr_workgroup_id_y 0
		.amdhsa_system_sgpr_workgroup_id_z 0
		.amdhsa_system_sgpr_workgroup_info 0
		.amdhsa_system_vgpr_workitem_id 0
		.amdhsa_next_free_vgpr 3
		.amdhsa_next_free_sgpr 16
		.amdhsa_reserve_vcc 0
		.amdhsa_float_round_mode_32 0
		.amdhsa_float_round_mode_16_64 0
		.amdhsa_float_denorm_mode_32 3
		.amdhsa_float_denorm_mode_16_64 3
		.amdhsa_dx10_clamp 1
		.amdhsa_ieee_mode 1
		.amdhsa_fp16_overflow 0
		.amdhsa_workgroup_processor_mode 1
		.amdhsa_memory_ordered 1
		.amdhsa_forward_progress 0
		.amdhsa_shared_vgpr_count 0
		.amdhsa_exception_fp_ieee_invalid_op 0
		.amdhsa_exception_fp_denorm_src 0
		.amdhsa_exception_fp_ieee_div_zero 0
		.amdhsa_exception_fp_ieee_overflow 0
		.amdhsa_exception_fp_ieee_underflow 0
		.amdhsa_exception_fp_ieee_inexact 0
		.amdhsa_exception_int_div_zero 0
	.end_amdhsa_kernel
	.section	.text._Z11fill_kernelI12hipblaslt_f8Z21hipblaslt_init_deviceIS0_Ev8ABC_dims24hipblaslt_initializationbPT_mmmmmEUlmE8_EvS5_mmT0_,"axG",@progbits,_Z11fill_kernelI12hipblaslt_f8Z21hipblaslt_init_deviceIS0_Ev8ABC_dims24hipblaslt_initializationbPT_mmmmmEUlmE8_EvS5_mmT0_,comdat
.Lfunc_end75:
	.size	_Z11fill_kernelI12hipblaslt_f8Z21hipblaslt_init_deviceIS0_Ev8ABC_dims24hipblaslt_initializationbPT_mmmmmEUlmE8_EvS5_mmT0_, .Lfunc_end75-_Z11fill_kernelI12hipblaslt_f8Z21hipblaslt_init_deviceIS0_Ev8ABC_dims24hipblaslt_initializationbPT_mmmmmEUlmE8_EvS5_mmT0_
                                        ; -- End function
	.section	.AMDGPU.csdata,"",@progbits
; Kernel info:
; codeLenInByte = 124
; NumSgprs: 16
; NumVgprs: 3
; ScratchSize: 0
; MemoryBound: 0
; FloatMode: 240
; IeeeMode: 1
; LDSByteSize: 0 bytes/workgroup (compile time only)
; SGPRBlocks: 1
; VGPRBlocks: 0
; NumSGPRsForWavesPerEU: 16
; NumVGPRsForWavesPerEU: 3
; Occupancy: 16
; WaveLimiterHint : 0
; COMPUTE_PGM_RSRC2:SCRATCH_EN: 0
; COMPUTE_PGM_RSRC2:USER_SGPR: 15
; COMPUTE_PGM_RSRC2:TRAP_HANDLER: 0
; COMPUTE_PGM_RSRC2:TGID_X_EN: 1
; COMPUTE_PGM_RSRC2:TGID_Y_EN: 0
; COMPUTE_PGM_RSRC2:TGID_Z_EN: 0
; COMPUTE_PGM_RSRC2:TIDIG_COMP_CNT: 0
	.section	.text._Z11fill_kernelI12hipblaslt_f8Z21hipblaslt_init_deviceIS0_Ev8ABC_dims24hipblaslt_initializationbPT_mmmmmEUlmE9_EvS5_mmT0_,"axG",@progbits,_Z11fill_kernelI12hipblaslt_f8Z21hipblaslt_init_deviceIS0_Ev8ABC_dims24hipblaslt_initializationbPT_mmmmmEUlmE9_EvS5_mmT0_,comdat
	.protected	_Z11fill_kernelI12hipblaslt_f8Z21hipblaslt_init_deviceIS0_Ev8ABC_dims24hipblaslt_initializationbPT_mmmmmEUlmE9_EvS5_mmT0_ ; -- Begin function _Z11fill_kernelI12hipblaslt_f8Z21hipblaslt_init_deviceIS0_Ev8ABC_dims24hipblaslt_initializationbPT_mmmmmEUlmE9_EvS5_mmT0_
	.globl	_Z11fill_kernelI12hipblaslt_f8Z21hipblaslt_init_deviceIS0_Ev8ABC_dims24hipblaslt_initializationbPT_mmmmmEUlmE9_EvS5_mmT0_
	.p2align	8
	.type	_Z11fill_kernelI12hipblaslt_f8Z21hipblaslt_init_deviceIS0_Ev8ABC_dims24hipblaslt_initializationbPT_mmmmmEUlmE9_EvS5_mmT0_,@function
_Z11fill_kernelI12hipblaslt_f8Z21hipblaslt_init_deviceIS0_Ev8ABC_dims24hipblaslt_initializationbPT_mmmmmEUlmE9_EvS5_mmT0_: ; @_Z11fill_kernelI12hipblaslt_f8Z21hipblaslt_init_deviceIS0_Ev8ABC_dims24hipblaslt_initializationbPT_mmmmmEUlmE9_EvS5_mmT0_
; %bb.0:
	s_clause 0x1
	s_load_b32 s2, s[0:1], 0x2c
	s_load_b128 s[4:7], s[0:1], 0x0
	s_waitcnt lgkmcnt(0)
	s_and_b32 s2, s2, 0xffff
	s_delay_alu instid0(SALU_CYCLE_1) | instskip(SKIP_2) | instid1(VALU_DEP_1)
	v_mad_u64_u32 v[1:2], null, s15, s2, v[0:1]
	v_mov_b32_e32 v2, 0
	s_mov_b32 s2, exec_lo
	v_cmpx_gt_u64_e64 s[6:7], v[1:2]
	s_cbranch_execz .LBB76_22
; %bb.1:
	s_clause 0x1
	s_load_b64 s[2:3], s[0:1], 0x10
	s_load_b32 s0, s[0:1], 0x18
	s_waitcnt lgkmcnt(0)
	v_add_co_u32 v4, s1, v1, s2
	s_delay_alu instid0(VALU_DEP_1) | instskip(NEXT) | instid1(VALU_DEP_2)
	v_add_co_ci_u32_e64 v5, null, 0, s3, s1
	v_add_nc_u32_e32 v6, s0, v4
	s_mov_b32 s0, 0xb90ffb1d
	s_delay_alu instid0(VALU_DEP_1) | instid1(SALU_CYCLE_1)
	v_mad_u64_u32 v[0:1], null, v6, s0, 0xdc6d3ef
	v_mad_u64_u32 v[1:2], null, 0x10dcd, v6, 1
	s_mov_b32 s0, 0x6ab9d291
	s_delay_alu instid0(VALU_DEP_2) | instskip(NEXT) | instid1(VALU_DEP_2)
	v_lshrrev_b32_e32 v3, 2, v0
	v_lshlrev_b32_e32 v7, 4, v1
	s_delay_alu instid0(VALU_DEP_2) | instskip(SKIP_2) | instid1(VALU_DEP_2)
	v_xor_b32_e32 v0, v3, v0
	v_mad_u64_u32 v[2:3], null, v6, s0, 0xffffffffdfb3c992
	s_mov_b32 s0, exec_lo
	v_lshlrev_b32_e32 v3, 1, v0
	s_delay_alu instid0(VALU_DEP_2) | instskip(NEXT) | instid1(VALU_DEP_2)
	v_lshrrev_b32_e32 v8, 2, v2
	v_xor_b32_e32 v3, v7, v3
	s_delay_alu instid0(VALU_DEP_2) | instskip(NEXT) | instid1(VALU_DEP_2)
	v_xor_b32_e32 v7, v8, v2
	v_xor3_b32 v1, v3, v1, v0
                                        ; implicit-def: $vgpr3
	s_delay_alu instid0(VALU_DEP_2) | instskip(NEXT) | instid1(VALU_DEP_2)
	v_lshlrev_b32_e32 v0, 1, v7
	v_lshlrev_b32_e32 v2, 4, v1
	s_delay_alu instid0(VALU_DEP_1) | instskip(SKIP_1) | instid1(VALU_DEP_2)
	v_xor_b32_e32 v0, v0, v2
	v_xor_b32_e32 v2, 0x587c5, v6
                                        ; implicit-def: $vgpr6
	v_xor3_b32 v0, v0, v7, v1
	s_delay_alu instid0(VALU_DEP_1) | instskip(NEXT) | instid1(VALU_DEP_1)
	v_add3_u32 v0, v2, v0, 0xb0f8a
	v_cvt_f32_u32_e32 v0, v0
	s_delay_alu instid0(VALU_DEP_1) | instskip(NEXT) | instid1(VALU_DEP_1)
	v_mul_f32_e32 v0, 0x2f800000, v0
	v_mul_f32_e32 v0, 0x40c90fdb, v0
	s_delay_alu instid0(VALU_DEP_1)
	v_cmpx_ngt_f32_e32 0x48000000, v0
	s_xor_b32 s3, exec_lo, s0
	s_cbranch_execz .LBB76_3
; %bb.2:
	s_mov_b32 s0, 0x7fffff
	v_mov_b32_e32 v8, 0
	v_and_or_b32 v3, v0, s0, 0x800000
	v_lshrrev_b32_e32 v13, 23, v0
	s_delay_alu instid0(VALU_DEP_2) | instskip(NEXT) | instid1(VALU_DEP_2)
	v_mad_u64_u32 v[6:7], null, 0xfe5163ab, v3, 0
	v_add_nc_u32_e32 v14, 0xffffff88, v13
	s_delay_alu instid0(VALU_DEP_1) | instskip(NEXT) | instid1(VALU_DEP_3)
	v_cmp_lt_u32_e32 vcc_lo, 63, v14
	v_mad_u64_u32 v[9:10], null, 0x3c439041, v3, v[7:8]
	v_cndmask_b32_e64 v15, 0, 0xffffffc0, vcc_lo
	s_delay_alu instid0(VALU_DEP_2) | instskip(NEXT) | instid1(VALU_DEP_2)
	v_mov_b32_e32 v7, v10
	v_add_nc_u32_e32 v15, v15, v14
	s_delay_alu instid0(VALU_DEP_2) | instskip(NEXT) | instid1(VALU_DEP_2)
	v_mad_u64_u32 v[10:11], null, 0xdb629599, v3, v[7:8]
	v_cmp_lt_u32_e64 s0, 31, v15
	s_delay_alu instid0(VALU_DEP_1) | instskip(NEXT) | instid1(VALU_DEP_3)
	v_cndmask_b32_e64 v16, 0, 0xffffffe0, s0
	v_dual_mov_b32 v7, v11 :: v_dual_cndmask_b32 v6, v10, v6
	s_delay_alu instid0(VALU_DEP_2) | instskip(NEXT) | instid1(VALU_DEP_2)
	v_add_nc_u32_e32 v16, v16, v15
	v_mad_u64_u32 v[11:12], null, 0xf534ddc0, v3, v[7:8]
	s_delay_alu instid0(VALU_DEP_2) | instskip(NEXT) | instid1(VALU_DEP_2)
	v_cmp_lt_u32_e64 s1, 31, v16
	v_mov_b32_e32 v7, v12
	s_delay_alu instid0(VALU_DEP_3) | instskip(NEXT) | instid1(VALU_DEP_2)
	v_cndmask_b32_e32 v9, v11, v9, vcc_lo
	v_mad_u64_u32 v[12:13], null, 0xfc2757d1, v3, v[7:8]
	s_delay_alu instid0(VALU_DEP_2) | instskip(NEXT) | instid1(VALU_DEP_2)
	v_cndmask_b32_e64 v6, v9, v6, s0
	v_mov_b32_e32 v7, v13
	s_delay_alu instid0(VALU_DEP_1) | instskip(NEXT) | instid1(VALU_DEP_1)
	v_mad_u64_u32 v[13:14], null, 0x4e441529, v3, v[7:8]
	v_mov_b32_e32 v7, v14
	s_delay_alu instid0(VALU_DEP_1) | instskip(SKIP_1) | instid1(VALU_DEP_4)
	v_mad_u64_u32 v[14:15], null, 0xa2f9836e, v3, v[7:8]
	v_cndmask_b32_e64 v3, 0, 0xffffffe0, s1
	v_cndmask_b32_e32 v7, v13, v11, vcc_lo
	s_delay_alu instid0(VALU_DEP_2) | instskip(NEXT) | instid1(VALU_DEP_4)
	v_add_nc_u32_e32 v3, v3, v16
	v_dual_cndmask_b32 v8, v14, v12 :: v_dual_cndmask_b32 v13, v15, v13
	v_cndmask_b32_e32 v12, v12, v10, vcc_lo
	s_delay_alu instid0(VALU_DEP_3) | instskip(NEXT) | instid1(VALU_DEP_3)
	v_cmp_eq_u32_e64 s2, 0, v3
	v_cndmask_b32_e64 v11, v8, v7, s0
	s_delay_alu instid0(VALU_DEP_4) | instskip(NEXT) | instid1(VALU_DEP_4)
	v_cndmask_b32_e64 v8, v13, v8, s0
	v_cndmask_b32_e64 v7, v7, v12, s0
	v_sub_nc_u32_e32 v13, 32, v3
	v_cndmask_b32_e64 v12, v12, v9, s0
	s_delay_alu instid0(VALU_DEP_4) | instskip(NEXT) | instid1(VALU_DEP_4)
	v_cndmask_b32_e64 v8, v8, v11, s1
	v_cndmask_b32_e64 v11, v11, v7, s1
	s_delay_alu instid0(VALU_DEP_3) | instskip(SKIP_1) | instid1(VALU_DEP_3)
	v_cndmask_b32_e64 v7, v7, v12, s1
	v_cndmask_b32_e64 v6, v12, v6, s1
	v_alignbit_b32 v14, v8, v11, v13
	s_delay_alu instid0(VALU_DEP_3) | instskip(NEXT) | instid1(VALU_DEP_3)
	v_alignbit_b32 v15, v11, v7, v13
	v_alignbit_b32 v13, v7, v6, v13
	s_delay_alu instid0(VALU_DEP_3) | instskip(NEXT) | instid1(VALU_DEP_3)
	v_cndmask_b32_e64 v3, v14, v8, s2
	v_cndmask_b32_e64 v8, v15, v11, s2
	s_delay_alu instid0(VALU_DEP_3) | instskip(NEXT) | instid1(VALU_DEP_3)
	v_cndmask_b32_e64 v7, v13, v7, s2
	v_bfe_u32 v10, v3, 29, 1
	s_delay_alu instid0(VALU_DEP_3) | instskip(NEXT) | instid1(VALU_DEP_3)
	v_alignbit_b32 v9, v3, v8, 30
	v_alignbit_b32 v8, v8, v7, 30
	;; [unrolled: 1-line block ×3, first 2 shown]
	s_delay_alu instid0(VALU_DEP_4) | instskip(NEXT) | instid1(VALU_DEP_1)
	v_sub_nc_u32_e32 v11, 0, v10
	v_xor_b32_e32 v12, v9, v11
	v_cmp_ne_u32_e32 vcc_lo, v9, v11
	v_xor_b32_e32 v7, v8, v11
	v_xor_b32_e32 v6, v6, v11
	s_delay_alu instid0(VALU_DEP_4) | instskip(NEXT) | instid1(VALU_DEP_1)
	v_clz_i32_u32_e32 v14, v12
	v_add_nc_u32_e32 v13, 1, v14
	s_delay_alu instid0(VALU_DEP_1) | instskip(NEXT) | instid1(VALU_DEP_1)
	v_cndmask_b32_e32 v9, 33, v13, vcc_lo
	v_sub_nc_u32_e32 v8, 32, v9
	s_delay_alu instid0(VALU_DEP_1) | instskip(SKIP_2) | instid1(VALU_DEP_2)
	v_alignbit_b32 v11, v12, v7, v8
	v_alignbit_b32 v6, v7, v6, v8
	v_lshrrev_b32_e32 v7, 29, v3
	v_alignbit_b32 v8, v11, v6, 9
	s_delay_alu instid0(VALU_DEP_2) | instskip(SKIP_1) | instid1(VALU_DEP_3)
	v_lshlrev_b32_e32 v7, 31, v7
	v_alignbit_b32 v11, v9, v11, 9
	v_clz_i32_u32_e32 v12, v8
	s_delay_alu instid0(VALU_DEP_2) | instskip(SKIP_1) | instid1(VALU_DEP_3)
	v_or_b32_e32 v11, v11, v7
	v_or_b32_e32 v7, 0x33800000, v7
	v_min_u32_e32 v12, 32, v12
	s_delay_alu instid0(VALU_DEP_3) | instskip(NEXT) | instid1(VALU_DEP_2)
	v_xor_b32_e32 v11, 1.0, v11
	v_sub_nc_u32_e32 v13, 31, v12
	v_add_lshl_u32 v9, v12, v9, 23
	s_delay_alu instid0(VALU_DEP_3) | instskip(NEXT) | instid1(VALU_DEP_3)
	v_mul_f32_e32 v12, 0x3fc90fda, v11
	v_alignbit_b32 v6, v8, v6, v13
	s_delay_alu instid0(VALU_DEP_3) | instskip(NEXT) | instid1(VALU_DEP_3)
	v_sub_nc_u32_e32 v7, v7, v9
	v_fma_f32 v8, 0x3fc90fda, v11, -v12
	s_delay_alu instid0(VALU_DEP_3) | instskip(NEXT) | instid1(VALU_DEP_2)
	v_lshrrev_b32_e32 v6, 9, v6
	v_fmamk_f32 v8, v11, 0x33a22168, v8
	s_delay_alu instid0(VALU_DEP_2) | instskip(NEXT) | instid1(VALU_DEP_1)
	v_or_b32_e32 v6, v7, v6
	v_fmac_f32_e32 v8, 0x3fc90fda, v6
	v_lshrrev_b32_e32 v6, 30, v3
	s_delay_alu instid0(VALU_DEP_1)
	v_dual_add_f32 v3, v12, v8 :: v_dual_add_nc_u32 v6, v10, v6
.LBB76_3:
	s_and_not1_saveexec_b32 s0, s3
; %bb.4:
	v_mul_f32_e32 v3, 0x3f22f983, v0
	s_delay_alu instid0(VALU_DEP_1) | instskip(NEXT) | instid1(VALU_DEP_1)
	v_rndne_f32_e32 v6, v3
	v_fmamk_f32 v3, v6, 0xbfc90fda, v0
	s_delay_alu instid0(VALU_DEP_1) | instskip(NEXT) | instid1(VALU_DEP_1)
	v_fmamk_f32 v3, v6, 0xb3a22168, v3
	v_fmamk_f32 v3, v6, 0xa7c234c4, v3
	v_cvt_i32_f32_e32 v6, v6
; %bb.5:
	s_or_b32 exec_lo, exec_lo, s0
	v_add3_u32 v1, v2, v1, 0x587c5
	s_mov_b32 s1, 0x37d75334
	s_delay_alu instid0(VALU_DEP_2) | instskip(SKIP_3) | instid1(VALU_DEP_2)
	v_and_b32_e32 v13, 1, v6
	s_mov_b32 s0, 0xb94c1982
	v_lshlrev_b32_e32 v6, 30, v6
	v_cvt_f32_u32_e32 v1, v1
	v_and_b32_e32 v6, 0x80000000, v6
	s_delay_alu instid0(VALU_DEP_2) | instskip(NEXT) | instid1(VALU_DEP_1)
	v_mul_f32_e32 v1, 0x2f800000, v1
	v_cmp_ngt_f32_e32 vcc_lo, 0x2edbe6ff, v1
	v_cndmask_b32_e32 v1, 0x2edbe6ff, v1, vcc_lo
	s_delay_alu instid0(VALU_DEP_1) | instskip(SKIP_1) | instid1(VALU_DEP_1)
	v_cmp_gt_f32_e32 vcc_lo, 0x800000, v1
	v_cndmask_b32_e64 v2, 1.0, 0x4f800000, vcc_lo
	v_mul_f32_e32 v1, v1, v2
	s_delay_alu instid0(VALU_DEP_1) | instskip(SKIP_2) | instid1(VALU_DEP_1)
	v_log_f32_e32 v1, v1
	s_waitcnt_depctr 0xfff
	v_mul_f32_e32 v2, 0x3f317217, v1
	v_fma_f32 v7, 0x3f317217, v1, -v2
	s_delay_alu instid0(VALU_DEP_1) | instskip(NEXT) | instid1(VALU_DEP_1)
	v_fmamk_f32 v7, v1, 0x3377d1cf, v7
	v_add_f32_e32 v2, v2, v7
	v_cndmask_b32_e64 v7, 0, 0x41b17218, vcc_lo
	v_cmp_gt_f32_e64 vcc_lo, 0x7f800000, |v1|
	s_delay_alu instid0(VALU_DEP_3) | instskip(NEXT) | instid1(VALU_DEP_1)
	v_cndmask_b32_e32 v1, v1, v2, vcc_lo
	v_sub_f32_e32 v1, v1, v7
	v_mul_f32_e32 v7, v3, v3
	s_delay_alu instid0(VALU_DEP_1) | instskip(SKIP_1) | instid1(VALU_DEP_2)
	v_dual_fmaak_f32 v10, s1, v7, 0xbab64f3b :: v_dual_mul_f32 v1, -2.0, v1
	v_fmaak_f32 v9, s0, v7, 0x3c0881c4
	v_fmaak_f32 v10, v7, v10, 0x3d2aabf7
	s_delay_alu instid0(VALU_DEP_3) | instskip(SKIP_1) | instid1(VALU_DEP_4)
	v_mul_f32_e32 v2, 0x4f800000, v1
	v_cmp_gt_f32_e32 vcc_lo, 0xf800000, v1
	v_fmaak_f32 v9, v7, v9, 0xbe2aaa9d
	s_delay_alu instid0(VALU_DEP_3) | instskip(NEXT) | instid1(VALU_DEP_1)
	v_cndmask_b32_e32 v1, v1, v2, vcc_lo
	v_sqrt_f32_e32 v2, v1
	s_waitcnt_depctr 0xfff
	v_add_nc_u32_e32 v8, -1, v2
	v_add_nc_u32_e32 v11, 1, v2
	s_delay_alu instid0(VALU_DEP_2) | instskip(NEXT) | instid1(VALU_DEP_2)
	v_fma_f32 v12, -v8, v2, v1
	v_fma_f32 v14, -v11, v2, v1
	s_delay_alu instid0(VALU_DEP_2) | instskip(NEXT) | instid1(VALU_DEP_1)
	v_cmp_ge_f32_e64 s0, 0, v12
	v_cndmask_b32_e64 v2, v2, v8, s0
	s_delay_alu instid0(VALU_DEP_3) | instskip(SKIP_2) | instid1(VALU_DEP_3)
	v_cmp_lt_f32_e64 s0, 0, v14
	v_mul_f32_e32 v8, v7, v9
	v_fmaak_f32 v9, v7, v10, 0xbf000004
	v_cndmask_b32_e64 v2, v2, v11, s0
	s_delay_alu instid0(VALU_DEP_3) | instskip(NEXT) | instid1(VALU_DEP_3)
	v_fmac_f32_e32 v3, v3, v8
	v_fma_f32 v7, v7, v9, 1.0
	v_cmp_eq_u32_e64 s0, 0, v13
	s_delay_alu instid0(VALU_DEP_4) | instskip(NEXT) | instid1(VALU_DEP_2)
	v_mul_f32_e32 v8, 0x37800000, v2
	v_cndmask_b32_e64 v3, -v3, v7, s0
	s_mov_b32 s0, exec_lo
	s_delay_alu instid0(VALU_DEP_2) | instskip(SKIP_1) | instid1(VALU_DEP_3)
	v_cndmask_b32_e32 v2, v2, v8, vcc_lo
	v_cmp_class_f32_e64 vcc_lo, v1, 0x260
	v_xor_b32_e32 v3, v6, v3
	s_delay_alu instid0(VALU_DEP_3) | instskip(SKIP_1) | instid1(VALU_DEP_3)
	v_cndmask_b32_e32 v1, v2, v1, vcc_lo
	v_cmp_lg_f32_e32 vcc_lo, 0x7f800000, v0
	v_cndmask_b32_e32 v0, 0x7fc00000, v3, vcc_lo
	s_delay_alu instid0(VALU_DEP_1) | instskip(NEXT) | instid1(VALU_DEP_1)
	v_mul_f32_e32 v3, v1, v0
	v_lshrrev_b32_e32 v7, 24, v3
	s_delay_alu instid0(VALU_DEP_1) | instskip(SKIP_2) | instid1(VALU_DEP_3)
	v_dual_mov_b32 v1, 0 :: v_dual_and_b32 v6, 0x80, v7
	v_and_b32_e32 v8, 0x7f800000, v3
	v_and_b32_e32 v0, 0x7fffff, v3
	v_or_b32_e32 v2, 0x7e, v6
	s_delay_alu instid0(VALU_DEP_4) | instskip(NEXT) | instid1(VALU_DEP_1)
	v_mov_b32_e32 v9, v1
	v_cmpx_ne_u64_e32 0x7f800000, v[8:9]
	s_xor_b32 s2, exec_lo, s0
	s_cbranch_execz .LBB76_19
; %bb.6:
	v_dual_mov_b32 v8, v1 :: v_dual_and_b32 v7, 0x7fffffff, v3
	s_mov_b32 s0, exec_lo
	s_delay_alu instid0(VALU_DEP_1)
	v_cmpx_gt_u64_e32 0x43e00001, v[7:8]
	s_xor_b32 s3, exec_lo, s0
	s_cbranch_execz .LBB76_18
; %bb.7:
	v_mov_b32_e32 v2, 0
	s_mov_b32 s6, exec_lo
	v_cmpx_ne_u32_e32 0, v3
	s_cbranch_execz .LBB76_17
; %bb.8:
	v_bfe_u32 v9, v3, 23, 8
	s_delay_alu instid0(VALU_DEP_1) | instskip(SKIP_2) | instid1(VALU_DEP_3)
	v_sub_nc_u32_e64 v2, 0x79, v9 clamp
	v_cmp_eq_u32_e32 vcc_lo, 0, v9
	v_add_nc_u32_e32 v9, 0xffffff88, v9
	v_cndmask_b32_e64 v12, v2, 0x78, vcc_lo
	v_or_b32_e32 v2, 0x800000, v0
	s_delay_alu instid0(VALU_DEP_2) | instskip(NEXT) | instid1(VALU_DEP_2)
	v_add_nc_u32_e32 v3, 20, v12
	v_cndmask_b32_e32 v0, v2, v0, vcc_lo
	v_add_nc_u32_e32 v7, 19, v12
	s_delay_alu instid0(VALU_DEP_3) | instskip(NEXT) | instid1(VALU_DEP_3)
	v_lshlrev_b64 v[2:3], v3, -1
	v_lshrrev_b64 v[10:11], v12, v[0:1]
	s_delay_alu instid0(VALU_DEP_3) | instskip(NEXT) | instid1(VALU_DEP_3)
	v_lshlrev_b64 v[7:8], v7, 1
	v_not_b32_e32 v1, v3
	v_mov_b32_e32 v3, 0
	v_not_b32_e32 v13, v2
	v_and_b32_e32 v2, 0x100000, v10
	s_delay_alu instid0(VALU_DEP_4) | instskip(NEXT) | instid1(VALU_DEP_3)
	v_and_b32_e32 v1, 0, v1
	v_and_b32_e32 v0, v0, v13
	s_delay_alu instid0(VALU_DEP_3) | instskip(NEXT) | instid1(VALU_DEP_2)
	v_cmp_eq_u64_e64 s0, 0, v[2:3]
	v_cmp_eq_u64_e64 s1, v[0:1], v[7:8]
	v_cndmask_b32_e64 v0, v9, 0xffffff89, vcc_lo
	v_lshrrev_b32_e32 v1, 23, v10
                                        ; implicit-def: $vgpr7
	s_delay_alu instid0(VALU_DEP_3) | instskip(NEXT) | instid1(VALU_DEP_1)
	s_and_b32 vcc_lo, s0, s1
	v_add3_u32 v8, v0, v12, v1
	v_subrev_co_ci_u32_e32 v2, vcc_lo, 0, v10, vcc_lo
	s_mov_b32 s0, exec_lo
	s_delay_alu instid0(VALU_DEP_2) | instskip(NEXT) | instid1(VALU_DEP_2)
	v_add_nc_u32_e32 v9, -1, v8
	v_and_b32_e32 v0, 0xfffff, v2
	s_delay_alu instid0(VALU_DEP_1) | instskip(SKIP_1) | instid1(VALU_DEP_4)
	v_add_co_u32 v0, vcc_lo, v0, v10
	v_add_co_ci_u32_e32 v1, vcc_lo, 0, v11, vcc_lo
	v_cmpx_ne_u32_e32 0, v9
	s_xor_b32 s0, exec_lo, s0
; %bb.9:
	s_delay_alu instid0(VALU_DEP_3) | instskip(SKIP_1) | instid1(VALU_DEP_2)
	v_and_b32_e32 v2, 0x1000000, v0
	v_bfe_u32 v7, v0, 24, 1
	v_cmp_eq_u64_e32 vcc_lo, 0, v[2:3]
	s_delay_alu instid0(VALU_DEP_2)
	v_lshrrev_b64 v[0:1], v7, v[0:1]
	v_cndmask_b32_e32 v7, v8, v9, vcc_lo
; %bb.10:
	s_and_not1_saveexec_b32 s0, s0
; %bb.11:
	s_delay_alu instid0(VALU_DEP_2)
	v_bfe_u32 v7, v0, 23, 1
; %bb.12:
	s_or_b32 exec_lo, exec_lo, s0
	s_delay_alu instid0(VALU_DEP_3) | instskip(NEXT) | instid1(VALU_DEP_2)
	v_lshrrev_b64 v[0:1], 20, v[0:1]
	v_cmp_gt_i32_e32 vcc_lo, 16, v7
	v_cmp_ne_u32_e64 s0, 0, v7
                                        ; implicit-def: $vgpr2
	s_delay_alu instid0(VALU_DEP_3) | instskip(NEXT) | instid1(VALU_DEP_1)
	v_dual_cndmask_b32 v1, 0, v1 :: v_dual_cndmask_b32 v0, 7, v0
	v_cmp_ne_u64_e32 vcc_lo, 0, v[0:1]
	s_delay_alu instid0(VALU_DEP_3) | instskip(NEXT) | instid1(SALU_CYCLE_1)
	s_or_b32 s0, s0, vcc_lo
	s_and_saveexec_b32 s1, s0
	s_delay_alu instid0(SALU_CYCLE_1)
	s_xor_b32 s0, exec_lo, s1
; %bb.13:
	v_min_i32_e32 v1, 15, v7
	s_delay_alu instid0(VALU_DEP_1) | instskip(NEXT) | instid1(VALU_DEP_1)
	v_lshl_or_b32 v1, v1, 3, v6
                                        ; implicit-def: $vgpr6
	v_and_or_b32 v2, v0, 7, v1
; %bb.14:
	s_and_not1_saveexec_b32 s0, s0
; %bb.15:
	v_mov_b32_e32 v2, v6
; %bb.16:
	s_or_b32 exec_lo, exec_lo, s0
.LBB76_17:
	s_delay_alu instid0(SALU_CYCLE_1)
	s_or_b32 exec_lo, exec_lo, s6
.LBB76_18:
	s_and_not1_saveexec_b32 s0, s3
	s_delay_alu instid0(SALU_CYCLE_1)
	s_or_b32 exec_lo, exec_lo, s0
                                        ; implicit-def: $vgpr7
                                        ; implicit-def: $vgpr0_vgpr1
.LBB76_19:
	s_and_not1_saveexec_b32 s0, s2
; %bb.20:
	v_cmp_eq_u64_e32 vcc_lo, 0, v[0:1]
	v_or_b32_e32 v3, 0x7f, v7
	s_delay_alu instid0(VALU_DEP_1)
	v_cndmask_b32_e32 v2, v3, v2, vcc_lo
; %bb.21:
	s_or_b32 exec_lo, exec_lo, s0
	v_add_co_u32 v0, vcc_lo, s4, v4
	v_add_co_ci_u32_e32 v1, vcc_lo, s5, v5, vcc_lo
	global_store_b8 v[0:1], v2, off
.LBB76_22:
	s_nop 0
	s_sendmsg sendmsg(MSG_DEALLOC_VGPRS)
	s_endpgm
	.section	.rodata,"a",@progbits
	.p2align	6, 0x0
	.amdhsa_kernel _Z11fill_kernelI12hipblaslt_f8Z21hipblaslt_init_deviceIS0_Ev8ABC_dims24hipblaslt_initializationbPT_mmmmmEUlmE9_EvS5_mmT0_
		.amdhsa_group_segment_fixed_size 0
		.amdhsa_private_segment_fixed_size 0
		.amdhsa_kernarg_size 288
		.amdhsa_user_sgpr_count 15
		.amdhsa_user_sgpr_dispatch_ptr 0
		.amdhsa_user_sgpr_queue_ptr 0
		.amdhsa_user_sgpr_kernarg_segment_ptr 1
		.amdhsa_user_sgpr_dispatch_id 0
		.amdhsa_user_sgpr_private_segment_size 0
		.amdhsa_wavefront_size32 1
		.amdhsa_uses_dynamic_stack 0
		.amdhsa_enable_private_segment 0
		.amdhsa_system_sgpr_workgroup_id_x 1
		.amdhsa_system_sgpr_workgroup_id_y 0
		.amdhsa_system_sgpr_workgroup_id_z 0
		.amdhsa_system_sgpr_workgroup_info 0
		.amdhsa_system_vgpr_workitem_id 0
		.amdhsa_next_free_vgpr 17
		.amdhsa_next_free_sgpr 16
		.amdhsa_reserve_vcc 1
		.amdhsa_float_round_mode_32 0
		.amdhsa_float_round_mode_16_64 0
		.amdhsa_float_denorm_mode_32 3
		.amdhsa_float_denorm_mode_16_64 3
		.amdhsa_dx10_clamp 1
		.amdhsa_ieee_mode 1
		.amdhsa_fp16_overflow 0
		.amdhsa_workgroup_processor_mode 1
		.amdhsa_memory_ordered 1
		.amdhsa_forward_progress 0
		.amdhsa_shared_vgpr_count 0
		.amdhsa_exception_fp_ieee_invalid_op 0
		.amdhsa_exception_fp_denorm_src 0
		.amdhsa_exception_fp_ieee_div_zero 0
		.amdhsa_exception_fp_ieee_overflow 0
		.amdhsa_exception_fp_ieee_underflow 0
		.amdhsa_exception_fp_ieee_inexact 0
		.amdhsa_exception_int_div_zero 0
	.end_amdhsa_kernel
	.section	.text._Z11fill_kernelI12hipblaslt_f8Z21hipblaslt_init_deviceIS0_Ev8ABC_dims24hipblaslt_initializationbPT_mmmmmEUlmE9_EvS5_mmT0_,"axG",@progbits,_Z11fill_kernelI12hipblaslt_f8Z21hipblaslt_init_deviceIS0_Ev8ABC_dims24hipblaslt_initializationbPT_mmmmmEUlmE9_EvS5_mmT0_,comdat
.Lfunc_end76:
	.size	_Z11fill_kernelI12hipblaslt_f8Z21hipblaslt_init_deviceIS0_Ev8ABC_dims24hipblaslt_initializationbPT_mmmmmEUlmE9_EvS5_mmT0_, .Lfunc_end76-_Z11fill_kernelI12hipblaslt_f8Z21hipblaslt_init_deviceIS0_Ev8ABC_dims24hipblaslt_initializationbPT_mmmmmEUlmE9_EvS5_mmT0_
                                        ; -- End function
	.section	.AMDGPU.csdata,"",@progbits
; Kernel info:
; codeLenInByte = 2128
; NumSgprs: 18
; NumVgprs: 17
; ScratchSize: 0
; MemoryBound: 0
; FloatMode: 240
; IeeeMode: 1
; LDSByteSize: 0 bytes/workgroup (compile time only)
; SGPRBlocks: 2
; VGPRBlocks: 2
; NumSGPRsForWavesPerEU: 18
; NumVGPRsForWavesPerEU: 17
; Occupancy: 16
; WaveLimiterHint : 0
; COMPUTE_PGM_RSRC2:SCRATCH_EN: 0
; COMPUTE_PGM_RSRC2:USER_SGPR: 15
; COMPUTE_PGM_RSRC2:TRAP_HANDLER: 0
; COMPUTE_PGM_RSRC2:TGID_X_EN: 1
; COMPUTE_PGM_RSRC2:TGID_Y_EN: 0
; COMPUTE_PGM_RSRC2:TGID_Z_EN: 0
; COMPUTE_PGM_RSRC2:TIDIG_COMP_CNT: 0
	.section	.text._Z11fill_kernelI13hipblaslt_bf8Z21hipblaslt_init_deviceIS0_Ev8ABC_dims24hipblaslt_initializationbPT_mmmmmEUlmE_EvS5_mmT0_,"axG",@progbits,_Z11fill_kernelI13hipblaslt_bf8Z21hipblaslt_init_deviceIS0_Ev8ABC_dims24hipblaslt_initializationbPT_mmmmmEUlmE_EvS5_mmT0_,comdat
	.protected	_Z11fill_kernelI13hipblaslt_bf8Z21hipblaslt_init_deviceIS0_Ev8ABC_dims24hipblaslt_initializationbPT_mmmmmEUlmE_EvS5_mmT0_ ; -- Begin function _Z11fill_kernelI13hipblaslt_bf8Z21hipblaslt_init_deviceIS0_Ev8ABC_dims24hipblaslt_initializationbPT_mmmmmEUlmE_EvS5_mmT0_
	.globl	_Z11fill_kernelI13hipblaslt_bf8Z21hipblaslt_init_deviceIS0_Ev8ABC_dims24hipblaslt_initializationbPT_mmmmmEUlmE_EvS5_mmT0_
	.p2align	8
	.type	_Z11fill_kernelI13hipblaslt_bf8Z21hipblaslt_init_deviceIS0_Ev8ABC_dims24hipblaslt_initializationbPT_mmmmmEUlmE_EvS5_mmT0_,@function
_Z11fill_kernelI13hipblaslt_bf8Z21hipblaslt_init_deviceIS0_Ev8ABC_dims24hipblaslt_initializationbPT_mmmmmEUlmE_EvS5_mmT0_: ; @_Z11fill_kernelI13hipblaslt_bf8Z21hipblaslt_init_deviceIS0_Ev8ABC_dims24hipblaslt_initializationbPT_mmmmmEUlmE_EvS5_mmT0_
; %bb.0:
	s_clause 0x1
	s_load_b32 s2, s[0:1], 0x8c
	s_load_b128 s[4:7], s[0:1], 0x0
	s_waitcnt lgkmcnt(0)
	s_and_b32 s2, s2, 0xffff
	s_delay_alu instid0(SALU_CYCLE_1) | instskip(SKIP_2) | instid1(VALU_DEP_1)
	v_mad_u64_u32 v[1:2], null, s15, s2, v[0:1]
	v_mov_b32_e32 v2, 0
	s_mov_b32 s2, exec_lo
	v_cmpx_gt_u64_e64 s[6:7], v[1:2]
	s_cbranch_execz .LBB77_2
; %bb.1:
	s_load_b64 s[2:3], s[0:1], 0x10
	s_mov_b32 s6, 0x19660d
	s_waitcnt lgkmcnt(0)
	v_add_co_u32 v4, s2, v1, s2
	s_delay_alu instid0(VALU_DEP_1) | instskip(NEXT) | instid1(VALU_DEP_2)
	v_add_co_ci_u32_e64 v5, null, 0, s3, s2
	v_mad_u64_u32 v[0:1], null, v4, s6, 0x3c6ef35f
	s_delay_alu instid0(VALU_DEP_1) | instskip(NEXT) | instid1(VALU_DEP_1)
	v_mad_u64_u32 v[2:3], null, 0x19660d, v5, v[1:2]
	v_mov_b32_e32 v1, v2
	s_delay_alu instid0(VALU_DEP_1) | instskip(NEXT) | instid1(VALU_DEP_1)
	v_lshlrev_b64 v[2:3], 13, v[0:1]
	v_xor_b32_e32 v1, v3, v1
	s_delay_alu instid0(VALU_DEP_2) | instskip(NEXT) | instid1(VALU_DEP_1)
	v_xor_b32_e32 v0, v2, v0
	v_lshrrev_b64 v[2:3], 17, v[0:1]
	s_delay_alu instid0(VALU_DEP_1) | instskip(NEXT) | instid1(VALU_DEP_2)
	v_xor_b32_e32 v1, v3, v1
	v_xor_b32_e32 v0, v2, v0
	s_delay_alu instid0(VALU_DEP_1) | instskip(NEXT) | instid1(VALU_DEP_1)
	v_lshlrev_b64 v[2:3], 5, v[0:1]
	v_xor_b32_e32 v1, v3, v1
	s_delay_alu instid0(VALU_DEP_2) | instskip(NEXT) | instid1(VALU_DEP_1)
	v_xor_b32_e32 v0, v2, v0
	v_lshlrev_b64 v[2:3], 13, v[0:1]
	s_delay_alu instid0(VALU_DEP_1) | instskip(NEXT) | instid1(VALU_DEP_2)
	v_xor_b32_e32 v1, v3, v1
	v_xor_b32_e32 v0, v2, v0
	s_delay_alu instid0(VALU_DEP_1) | instskip(NEXT) | instid1(VALU_DEP_1)
	v_lshrrev_b64 v[2:3], 17, v[0:1]
	v_xor_b32_e32 v1, v3, v1
	s_delay_alu instid0(VALU_DEP_2) | instskip(NEXT) | instid1(VALU_DEP_1)
	v_xor_b32_e32 v0, v2, v0
	v_lshlrev_b64 v[2:3], 5, v[0:1]
	s_delay_alu instid0(VALU_DEP_1) | instskip(NEXT) | instid1(VALU_DEP_2)
	v_xor_b32_e32 v1, v3, v1
	v_xor_b32_e32 v0, v2, v0
	s_delay_alu instid0(VALU_DEP_1) | instskip(NEXT) | instid1(VALU_DEP_1)
	v_lshlrev_b64 v[2:3], 13, v[0:1]
	v_xor_b32_e32 v1, v3, v1
	s_delay_alu instid0(VALU_DEP_2) | instskip(NEXT) | instid1(VALU_DEP_1)
	v_xor_b32_e32 v0, v2, v0
	v_alignbit_b32 v1, v1, v0, 17
	s_delay_alu instid0(VALU_DEP_1) | instskip(NEXT) | instid1(VALU_DEP_1)
	v_xor_b32_e32 v0, v1, v0
	v_lshlrev_b32_e32 v1, 5, v0
	s_delay_alu instid0(VALU_DEP_1) | instskip(NEXT) | instid1(VALU_DEP_1)
	v_xor_b32_e32 v0, v1, v0
	v_mul_hi_u32 v1, 0x51eb851f, v0
	s_delay_alu instid0(VALU_DEP_1) | instskip(NEXT) | instid1(VALU_DEP_1)
	v_lshrrev_b32_e32 v1, 5, v1
	v_mul_lo_u32 v1, 0x64, v1
	s_delay_alu instid0(VALU_DEP_1)
	v_sub_nc_u32_e32 v0, v0, v1
	global_load_u8 v2, v0, s[0:1] offset:24
	v_add_co_u32 v0, vcc_lo, s4, v4
	v_add_co_ci_u32_e32 v1, vcc_lo, s5, v5, vcc_lo
	s_waitcnt vmcnt(0)
	global_store_b8 v[0:1], v2, off
.LBB77_2:
	s_nop 0
	s_sendmsg sendmsg(MSG_DEALLOC_VGPRS)
	s_endpgm
	.section	.rodata,"a",@progbits
	.p2align	6, 0x0
	.amdhsa_kernel _Z11fill_kernelI13hipblaslt_bf8Z21hipblaslt_init_deviceIS0_Ev8ABC_dims24hipblaslt_initializationbPT_mmmmmEUlmE_EvS5_mmT0_
		.amdhsa_group_segment_fixed_size 0
		.amdhsa_private_segment_fixed_size 0
		.amdhsa_kernarg_size 384
		.amdhsa_user_sgpr_count 15
		.amdhsa_user_sgpr_dispatch_ptr 0
		.amdhsa_user_sgpr_queue_ptr 0
		.amdhsa_user_sgpr_kernarg_segment_ptr 1
		.amdhsa_user_sgpr_dispatch_id 0
		.amdhsa_user_sgpr_private_segment_size 0
		.amdhsa_wavefront_size32 1
		.amdhsa_uses_dynamic_stack 0
		.amdhsa_enable_private_segment 0
		.amdhsa_system_sgpr_workgroup_id_x 1
		.amdhsa_system_sgpr_workgroup_id_y 0
		.amdhsa_system_sgpr_workgroup_id_z 0
		.amdhsa_system_sgpr_workgroup_info 0
		.amdhsa_system_vgpr_workitem_id 0
		.amdhsa_next_free_vgpr 6
		.amdhsa_next_free_sgpr 16
		.amdhsa_reserve_vcc 1
		.amdhsa_float_round_mode_32 0
		.amdhsa_float_round_mode_16_64 0
		.amdhsa_float_denorm_mode_32 3
		.amdhsa_float_denorm_mode_16_64 3
		.amdhsa_dx10_clamp 1
		.amdhsa_ieee_mode 1
		.amdhsa_fp16_overflow 0
		.amdhsa_workgroup_processor_mode 1
		.amdhsa_memory_ordered 1
		.amdhsa_forward_progress 0
		.amdhsa_shared_vgpr_count 0
		.amdhsa_exception_fp_ieee_invalid_op 0
		.amdhsa_exception_fp_denorm_src 0
		.amdhsa_exception_fp_ieee_div_zero 0
		.amdhsa_exception_fp_ieee_overflow 0
		.amdhsa_exception_fp_ieee_underflow 0
		.amdhsa_exception_fp_ieee_inexact 0
		.amdhsa_exception_int_div_zero 0
	.end_amdhsa_kernel
	.section	.text._Z11fill_kernelI13hipblaslt_bf8Z21hipblaslt_init_deviceIS0_Ev8ABC_dims24hipblaslt_initializationbPT_mmmmmEUlmE_EvS5_mmT0_,"axG",@progbits,_Z11fill_kernelI13hipblaslt_bf8Z21hipblaslt_init_deviceIS0_Ev8ABC_dims24hipblaslt_initializationbPT_mmmmmEUlmE_EvS5_mmT0_,comdat
.Lfunc_end77:
	.size	_Z11fill_kernelI13hipblaslt_bf8Z21hipblaslt_init_deviceIS0_Ev8ABC_dims24hipblaslt_initializationbPT_mmmmmEUlmE_EvS5_mmT0_, .Lfunc_end77-_Z11fill_kernelI13hipblaslt_bf8Z21hipblaslt_init_deviceIS0_Ev8ABC_dims24hipblaslt_initializationbPT_mmmmmEUlmE_EvS5_mmT0_
                                        ; -- End function
	.section	.AMDGPU.csdata,"",@progbits
; Kernel info:
; codeLenInByte = 404
; NumSgprs: 18
; NumVgprs: 6
; ScratchSize: 0
; MemoryBound: 0
; FloatMode: 240
; IeeeMode: 1
; LDSByteSize: 0 bytes/workgroup (compile time only)
; SGPRBlocks: 2
; VGPRBlocks: 0
; NumSGPRsForWavesPerEU: 18
; NumVGPRsForWavesPerEU: 6
; Occupancy: 16
; WaveLimiterHint : 0
; COMPUTE_PGM_RSRC2:SCRATCH_EN: 0
; COMPUTE_PGM_RSRC2:USER_SGPR: 15
; COMPUTE_PGM_RSRC2:TRAP_HANDLER: 0
; COMPUTE_PGM_RSRC2:TGID_X_EN: 1
; COMPUTE_PGM_RSRC2:TGID_Y_EN: 0
; COMPUTE_PGM_RSRC2:TGID_Z_EN: 0
; COMPUTE_PGM_RSRC2:TIDIG_COMP_CNT: 0
	.section	.text._Z11fill_kernelI13hipblaslt_bf8Z21hipblaslt_init_deviceIS0_Ev8ABC_dims24hipblaslt_initializationbPT_mmmmmEUlmE0_EvS5_mmT0_,"axG",@progbits,_Z11fill_kernelI13hipblaslt_bf8Z21hipblaslt_init_deviceIS0_Ev8ABC_dims24hipblaslt_initializationbPT_mmmmmEUlmE0_EvS5_mmT0_,comdat
	.protected	_Z11fill_kernelI13hipblaslt_bf8Z21hipblaslt_init_deviceIS0_Ev8ABC_dims24hipblaslt_initializationbPT_mmmmmEUlmE0_EvS5_mmT0_ ; -- Begin function _Z11fill_kernelI13hipblaslt_bf8Z21hipblaslt_init_deviceIS0_Ev8ABC_dims24hipblaslt_initializationbPT_mmmmmEUlmE0_EvS5_mmT0_
	.globl	_Z11fill_kernelI13hipblaslt_bf8Z21hipblaslt_init_deviceIS0_Ev8ABC_dims24hipblaslt_initializationbPT_mmmmmEUlmE0_EvS5_mmT0_
	.p2align	8
	.type	_Z11fill_kernelI13hipblaslt_bf8Z21hipblaslt_init_deviceIS0_Ev8ABC_dims24hipblaslt_initializationbPT_mmmmmEUlmE0_EvS5_mmT0_,@function
_Z11fill_kernelI13hipblaslt_bf8Z21hipblaslt_init_deviceIS0_Ev8ABC_dims24hipblaslt_initializationbPT_mmmmmEUlmE0_EvS5_mmT0_: ; @_Z11fill_kernelI13hipblaslt_bf8Z21hipblaslt_init_deviceIS0_Ev8ABC_dims24hipblaslt_initializationbPT_mmmmmEUlmE0_EvS5_mmT0_
; %bb.0:
	s_clause 0x1
	s_load_b32 s2, s[0:1], 0x2c
	s_load_b128 s[4:7], s[0:1], 0x0
	s_waitcnt lgkmcnt(0)
	s_and_b32 s2, s2, 0xffff
	s_delay_alu instid0(SALU_CYCLE_1) | instskip(SKIP_2) | instid1(VALU_DEP_1)
	v_mad_u64_u32 v[1:2], null, s15, s2, v[0:1]
	v_mov_b32_e32 v2, 0
	s_mov_b32 s2, exec_lo
	v_cmpx_gt_u64_e64 s[6:7], v[1:2]
	s_cbranch_execz .LBB78_14
; %bb.1:
	s_load_b64 s[0:1], s[0:1], 0x10
	s_mov_b32 s2, 0x19660d
	s_waitcnt lgkmcnt(0)
	v_add_co_u32 v4, s0, v1, s0
	s_delay_alu instid0(VALU_DEP_1) | instskip(NEXT) | instid1(VALU_DEP_2)
	v_add_co_ci_u32_e64 v5, null, 0, s1, s0
	v_mad_u64_u32 v[0:1], null, v4, s2, 0x3c6ef35f
	s_delay_alu instid0(VALU_DEP_1) | instskip(NEXT) | instid1(VALU_DEP_1)
	v_mad_u64_u32 v[6:7], null, 0x19660d, v5, v[1:2]
	v_mov_b32_e32 v1, v6
	s_delay_alu instid0(VALU_DEP_1) | instskip(NEXT) | instid1(VALU_DEP_1)
	v_lshlrev_b64 v[6:7], 13, v[0:1]
	v_xor_b32_e32 v1, v7, v1
	s_delay_alu instid0(VALU_DEP_2) | instskip(NEXT) | instid1(VALU_DEP_1)
	v_xor_b32_e32 v0, v6, v0
	v_lshrrev_b64 v[6:7], 17, v[0:1]
	s_delay_alu instid0(VALU_DEP_1) | instskip(NEXT) | instid1(VALU_DEP_2)
	v_xor_b32_e32 v1, v7, v1
	v_xor_b32_e32 v0, v6, v0
	s_delay_alu instid0(VALU_DEP_1) | instskip(NEXT) | instid1(VALU_DEP_1)
	v_lshlrev_b64 v[6:7], 5, v[0:1]
	v_xor_b32_e32 v1, v7, v1
	s_delay_alu instid0(VALU_DEP_2) | instskip(NEXT) | instid1(VALU_DEP_1)
	v_xor_b32_e32 v0, v6, v0
	v_lshlrev_b64 v[6:7], 13, v[0:1]
	s_delay_alu instid0(VALU_DEP_1) | instskip(NEXT) | instid1(VALU_DEP_2)
	v_xor_b32_e32 v1, v7, v1
	v_xor_b32_e32 v0, v6, v0
	s_delay_alu instid0(VALU_DEP_1) | instskip(NEXT) | instid1(VALU_DEP_1)
	v_lshrrev_b64 v[6:7], 17, v[0:1]
	v_xor_b32_e32 v1, v7, v1
	s_delay_alu instid0(VALU_DEP_2) | instskip(NEXT) | instid1(VALU_DEP_1)
	v_xor_b32_e32 v0, v6, v0
	v_lshlrev_b64 v[6:7], 5, v[0:1]
	s_delay_alu instid0(VALU_DEP_1) | instskip(NEXT) | instid1(VALU_DEP_2)
	v_xor_b32_e32 v1, v7, v1
	v_xor_b32_e32 v0, v6, v0
	s_delay_alu instid0(VALU_DEP_1) | instskip(NEXT) | instid1(VALU_DEP_1)
	v_lshlrev_b64 v[6:7], 13, v[0:1]
	v_xor_b32_e32 v1, v7, v1
	s_delay_alu instid0(VALU_DEP_2) | instskip(NEXT) | instid1(VALU_DEP_1)
	v_xor_b32_e32 v0, v6, v0
	v_alignbit_b32 v1, v1, v0, 17
	s_delay_alu instid0(VALU_DEP_1) | instskip(NEXT) | instid1(VALU_DEP_1)
	v_xor_b32_e32 v0, v1, v0
	v_lshlrev_b32_e32 v1, 5, v0
	s_delay_alu instid0(VALU_DEP_1) | instskip(NEXT) | instid1(VALU_DEP_1)
	v_xor_b32_e32 v0, v1, v0
	v_mul_hi_u32 v1, 0xcccccccd, v0
	s_delay_alu instid0(VALU_DEP_1) | instskip(NEXT) | instid1(VALU_DEP_1)
	v_lshrrev_b32_e32 v1, 3, v1
	v_mul_lo_u32 v1, v1, 10
	s_delay_alu instid0(VALU_DEP_1) | instskip(NEXT) | instid1(VALU_DEP_1)
	v_sub_nc_u32_e32 v0, v0, v1
	v_add_nc_u32_e32 v0, 1, v0
	s_delay_alu instid0(VALU_DEP_1) | instskip(NEXT) | instid1(VALU_DEP_1)
	v_cvt_f32_u32_e32 v0, v0
	v_and_b32_e32 v3, 0x7f800000, v0
	v_and_b32_e32 v1, 0x7fffff, v0
	s_delay_alu instid0(VALU_DEP_2) | instskip(SKIP_1) | instid1(SALU_CYCLE_1)
	v_cmp_ne_u32_e32 vcc_lo, 0x7f800000, v3
                                        ; implicit-def: $vgpr3
	s_and_saveexec_b32 s0, vcc_lo
	s_xor_b32 s2, exec_lo, s0
	s_cbranch_execz .LBB78_11
; %bb.2:
	v_mov_b32_e32 v3, 0x7b
	s_mov_b32 s3, exec_lo
	v_cmpx_gt_u32_e32 0x47600001, v0
	s_cbranch_execz .LBB78_10
; %bb.3:
	v_lshrrev_b32_e32 v12, 23, v0
	v_cmp_gt_u32_e32 vcc_lo, 0x800000, v0
	s_delay_alu instid0(VALU_DEP_2) | instskip(NEXT) | instid1(VALU_DEP_1)
	v_sub_nc_u32_e64 v3, 0x71, v12 clamp
	v_cndmask_b32_e64 v0, v3, 0x70, vcc_lo
	v_or_b32_e32 v3, 0x800000, v1
	s_delay_alu instid0(VALU_DEP_1) | instskip(SKIP_1) | instid1(VALU_DEP_2)
	v_dual_cndmask_b32 v1, v3, v1 :: v_dual_add_nc_u32 v6, 21, v0
	v_dual_mov_b32 v3, 0 :: v_dual_add_nc_u32 v10, 20, v0
	v_lshlrev_b64 v[6:7], v6, -1
	s_delay_alu instid0(VALU_DEP_3) | instskip(NEXT) | instid1(VALU_DEP_2)
	v_lshrrev_b64 v[8:9], v0, v[1:2]
	v_not_b32_e32 v11, v7
	s_delay_alu instid0(VALU_DEP_3) | instskip(SKIP_1) | instid1(VALU_DEP_4)
	v_not_b32_e32 v13, v6
	v_lshlrev_b64 v[6:7], v10, 1
	v_and_b32_e32 v2, 0x200000, v8
	s_delay_alu instid0(VALU_DEP_4) | instskip(NEXT) | instid1(VALU_DEP_4)
	v_and_b32_e32 v11, 0, v11
	v_and_b32_e32 v10, v1, v13
	v_add_nc_u32_e32 v1, 0xffffff90, v12
	s_delay_alu instid0(VALU_DEP_4) | instskip(SKIP_1) | instid1(VALU_DEP_4)
	v_cmp_eq_u64_e64 s0, 0, v[2:3]
	v_lshrrev_b32_e32 v2, 23, v8
	v_cmp_eq_u64_e64 s1, v[10:11], v[6:7]
	s_delay_alu instid0(VALU_DEP_4) | instskip(NEXT) | instid1(VALU_DEP_1)
	v_cndmask_b32_e64 v1, v1, 0xffffff91, vcc_lo
	v_add3_u32 v6, v1, v0, v2
	s_delay_alu instid0(VALU_DEP_3) | instskip(SKIP_2) | instid1(VALU_DEP_1)
	s_and_b32 vcc_lo, s0, s1
	s_mov_b32 s0, exec_lo
	v_subrev_co_ci_u32_e32 v7, vcc_lo, 0, v8, vcc_lo
                                        ; implicit-def: $vgpr2
	v_and_b32_e32 v0, 0x1fffff, v7
	v_add_nc_u32_e32 v7, -1, v6
	s_delay_alu instid0(VALU_DEP_2) | instskip(SKIP_1) | instid1(VALU_DEP_3)
	v_add_co_u32 v0, vcc_lo, v0, v8
	v_add_co_ci_u32_e32 v1, vcc_lo, 0, v9, vcc_lo
	v_cmpx_ne_u32_e32 0, v7
	s_xor_b32 s0, exec_lo, s0
; %bb.4:
	s_delay_alu instid0(VALU_DEP_3) | instskip(SKIP_1) | instid1(VALU_DEP_2)
	v_and_b32_e32 v2, 0x1000000, v0
	v_bfe_u32 v8, v0, 24, 1
	v_cmp_eq_u64_e32 vcc_lo, 0, v[2:3]
	s_delay_alu instid0(VALU_DEP_2)
	v_lshrrev_b64 v[0:1], v8, v[0:1]
	v_cndmask_b32_e32 v2, v6, v7, vcc_lo
; %bb.5:
	s_and_not1_saveexec_b32 s0, s0
; %bb.6:
	s_delay_alu instid0(VALU_DEP_2)
	v_bfe_u32 v2, v0, 23, 1
; %bb.7:
	s_or_b32 exec_lo, exec_lo, s0
	s_delay_alu instid0(VALU_DEP_3) | instskip(NEXT) | instid1(VALU_DEP_2)
	v_lshrrev_b64 v[0:1], 21, v[0:1]
	v_cmp_gt_i32_e32 vcc_lo, 32, v2
	v_cmp_ne_u32_e64 s0, 0, v2
	v_mov_b32_e32 v3, 0
	s_delay_alu instid0(VALU_DEP_4) | instskip(NEXT) | instid1(VALU_DEP_1)
	v_dual_cndmask_b32 v1, 0, v1 :: v_dual_cndmask_b32 v0, 3, v0
	v_cmp_ne_u64_e32 vcc_lo, 0, v[0:1]
	s_delay_alu instid0(VALU_DEP_4) | instskip(NEXT) | instid1(SALU_CYCLE_1)
	s_or_b32 s1, s0, vcc_lo
	s_and_saveexec_b32 s0, s1
; %bb.8:
	v_min_i32_e32 v1, 31, v2
	s_delay_alu instid0(VALU_DEP_1) | instskip(NEXT) | instid1(VALU_DEP_1)
	v_lshlrev_b32_e32 v1, 2, v1
	v_and_or_b32 v3, v0, 3, v1
; %bb.9:
	s_or_b32 exec_lo, exec_lo, s0
.LBB78_10:
	s_delay_alu instid0(SALU_CYCLE_1)
	s_or_b32 exec_lo, exec_lo, s3
                                        ; implicit-def: $vgpr1_vgpr2
.LBB78_11:
	s_and_not1_saveexec_b32 s0, s2
; %bb.12:
	v_cmp_eq_u64_e32 vcc_lo, 0, v[1:2]
	v_mov_b32_e32 v0, 0x7b
	s_delay_alu instid0(VALU_DEP_1)
	v_cndmask_b32_e32 v3, 0x7f, v0, vcc_lo
; %bb.13:
	s_or_b32 exec_lo, exec_lo, s0
	v_add_co_u32 v0, vcc_lo, s4, v4
	v_add_co_ci_u32_e32 v1, vcc_lo, s5, v5, vcc_lo
	global_store_b8 v[0:1], v3, off
.LBB78_14:
	s_nop 0
	s_sendmsg sendmsg(MSG_DEALLOC_VGPRS)
	s_endpgm
	.section	.rodata,"a",@progbits
	.p2align	6, 0x0
	.amdhsa_kernel _Z11fill_kernelI13hipblaslt_bf8Z21hipblaslt_init_deviceIS0_Ev8ABC_dims24hipblaslt_initializationbPT_mmmmmEUlmE0_EvS5_mmT0_
		.amdhsa_group_segment_fixed_size 0
		.amdhsa_private_segment_fixed_size 0
		.amdhsa_kernarg_size 288
		.amdhsa_user_sgpr_count 15
		.amdhsa_user_sgpr_dispatch_ptr 0
		.amdhsa_user_sgpr_queue_ptr 0
		.amdhsa_user_sgpr_kernarg_segment_ptr 1
		.amdhsa_user_sgpr_dispatch_id 0
		.amdhsa_user_sgpr_private_segment_size 0
		.amdhsa_wavefront_size32 1
		.amdhsa_uses_dynamic_stack 0
		.amdhsa_enable_private_segment 0
		.amdhsa_system_sgpr_workgroup_id_x 1
		.amdhsa_system_sgpr_workgroup_id_y 0
		.amdhsa_system_sgpr_workgroup_id_z 0
		.amdhsa_system_sgpr_workgroup_info 0
		.amdhsa_system_vgpr_workitem_id 0
		.amdhsa_next_free_vgpr 14
		.amdhsa_next_free_sgpr 16
		.amdhsa_reserve_vcc 1
		.amdhsa_float_round_mode_32 0
		.amdhsa_float_round_mode_16_64 0
		.amdhsa_float_denorm_mode_32 3
		.amdhsa_float_denorm_mode_16_64 3
		.amdhsa_dx10_clamp 1
		.amdhsa_ieee_mode 1
		.amdhsa_fp16_overflow 0
		.amdhsa_workgroup_processor_mode 1
		.amdhsa_memory_ordered 1
		.amdhsa_forward_progress 0
		.amdhsa_shared_vgpr_count 0
		.amdhsa_exception_fp_ieee_invalid_op 0
		.amdhsa_exception_fp_denorm_src 0
		.amdhsa_exception_fp_ieee_div_zero 0
		.amdhsa_exception_fp_ieee_overflow 0
		.amdhsa_exception_fp_ieee_underflow 0
		.amdhsa_exception_fp_ieee_inexact 0
		.amdhsa_exception_int_div_zero 0
	.end_amdhsa_kernel
	.section	.text._Z11fill_kernelI13hipblaslt_bf8Z21hipblaslt_init_deviceIS0_Ev8ABC_dims24hipblaslt_initializationbPT_mmmmmEUlmE0_EvS5_mmT0_,"axG",@progbits,_Z11fill_kernelI13hipblaslt_bf8Z21hipblaslt_init_deviceIS0_Ev8ABC_dims24hipblaslt_initializationbPT_mmmmmEUlmE0_EvS5_mmT0_,comdat
.Lfunc_end78:
	.size	_Z11fill_kernelI13hipblaslt_bf8Z21hipblaslt_init_deviceIS0_Ev8ABC_dims24hipblaslt_initializationbPT_mmmmmEUlmE0_EvS5_mmT0_, .Lfunc_end78-_Z11fill_kernelI13hipblaslt_bf8Z21hipblaslt_init_deviceIS0_Ev8ABC_dims24hipblaslt_initializationbPT_mmmmmEUlmE0_EvS5_mmT0_
                                        ; -- End function
	.section	.AMDGPU.csdata,"",@progbits
; Kernel info:
; codeLenInByte = 880
; NumSgprs: 18
; NumVgprs: 14
; ScratchSize: 0
; MemoryBound: 0
; FloatMode: 240
; IeeeMode: 1
; LDSByteSize: 0 bytes/workgroup (compile time only)
; SGPRBlocks: 2
; VGPRBlocks: 1
; NumSGPRsForWavesPerEU: 18
; NumVGPRsForWavesPerEU: 14
; Occupancy: 16
; WaveLimiterHint : 0
; COMPUTE_PGM_RSRC2:SCRATCH_EN: 0
; COMPUTE_PGM_RSRC2:USER_SGPR: 15
; COMPUTE_PGM_RSRC2:TRAP_HANDLER: 0
; COMPUTE_PGM_RSRC2:TGID_X_EN: 1
; COMPUTE_PGM_RSRC2:TGID_Y_EN: 0
; COMPUTE_PGM_RSRC2:TGID_Z_EN: 0
; COMPUTE_PGM_RSRC2:TIDIG_COMP_CNT: 0
	.section	.text._Z11fill_kernelI13hipblaslt_bf8Z21hipblaslt_init_deviceIS0_Ev8ABC_dims24hipblaslt_initializationbPT_mmmmmEUlmE1_EvS5_mmT0_,"axG",@progbits,_Z11fill_kernelI13hipblaslt_bf8Z21hipblaslt_init_deviceIS0_Ev8ABC_dims24hipblaslt_initializationbPT_mmmmmEUlmE1_EvS5_mmT0_,comdat
	.protected	_Z11fill_kernelI13hipblaslt_bf8Z21hipblaslt_init_deviceIS0_Ev8ABC_dims24hipblaslt_initializationbPT_mmmmmEUlmE1_EvS5_mmT0_ ; -- Begin function _Z11fill_kernelI13hipblaslt_bf8Z21hipblaslt_init_deviceIS0_Ev8ABC_dims24hipblaslt_initializationbPT_mmmmmEUlmE1_EvS5_mmT0_
	.globl	_Z11fill_kernelI13hipblaslt_bf8Z21hipblaslt_init_deviceIS0_Ev8ABC_dims24hipblaslt_initializationbPT_mmmmmEUlmE1_EvS5_mmT0_
	.p2align	8
	.type	_Z11fill_kernelI13hipblaslt_bf8Z21hipblaslt_init_deviceIS0_Ev8ABC_dims24hipblaslt_initializationbPT_mmmmmEUlmE1_EvS5_mmT0_,@function
_Z11fill_kernelI13hipblaslt_bf8Z21hipblaslt_init_deviceIS0_Ev8ABC_dims24hipblaslt_initializationbPT_mmmmmEUlmE1_EvS5_mmT0_: ; @_Z11fill_kernelI13hipblaslt_bf8Z21hipblaslt_init_deviceIS0_Ev8ABC_dims24hipblaslt_initializationbPT_mmmmmEUlmE1_EvS5_mmT0_
; %bb.0:
	s_clause 0x1
	s_load_b32 s2, s[0:1], 0x34
	s_load_b256 s[4:11], s[0:1], 0x0
	s_waitcnt lgkmcnt(0)
	s_and_b32 s2, s2, 0xffff
	s_delay_alu instid0(SALU_CYCLE_1) | instskip(SKIP_2) | instid1(VALU_DEP_1)
	v_mad_u64_u32 v[1:2], null, s15, s2, v[0:1]
	v_mov_b32_e32 v2, 0
	s_mov_b32 s2, exec_lo
	v_cmpx_gt_u64_e64 s[6:7], v[1:2]
	s_cbranch_execz .LBB79_22
; %bb.1:
	v_add_co_u32 v4, s2, v1, s8
	s_delay_alu instid0(VALU_DEP_1)
	v_add_co_ci_u32_e64 v5, null, 0, s9, s2
	s_mov_b32 s2, 0x19660d
	s_delay_alu instid0(VALU_DEP_2) | instid1(SALU_CYCLE_1)
	v_mad_u64_u32 v[0:1], null, v4, s2, 0x3c6ef35f
	s_load_b64 s[2:3], s[0:1], 0x20
	s_delay_alu instid0(VALU_DEP_1) | instskip(NEXT) | instid1(VALU_DEP_1)
	v_mad_u64_u32 v[6:7], null, 0x19660d, v5, v[1:2]
	v_mov_b32_e32 v1, v6
	s_delay_alu instid0(VALU_DEP_1) | instskip(NEXT) | instid1(VALU_DEP_1)
	v_lshlrev_b64 v[6:7], 13, v[0:1]
	v_xor_b32_e32 v1, v7, v1
	s_delay_alu instid0(VALU_DEP_2) | instskip(NEXT) | instid1(VALU_DEP_1)
	v_xor_b32_e32 v0, v6, v0
	v_lshrrev_b64 v[6:7], 17, v[0:1]
	s_delay_alu instid0(VALU_DEP_1) | instskip(NEXT) | instid1(VALU_DEP_2)
	v_xor_b32_e32 v1, v7, v1
	v_xor_b32_e32 v0, v6, v0
	s_delay_alu instid0(VALU_DEP_1) | instskip(NEXT) | instid1(VALU_DEP_1)
	v_lshlrev_b64 v[6:7], 5, v[0:1]
	v_xor_b32_e32 v1, v7, v1
	s_delay_alu instid0(VALU_DEP_2) | instskip(NEXT) | instid1(VALU_DEP_1)
	v_xor_b32_e32 v0, v6, v0
	v_lshlrev_b64 v[6:7], 13, v[0:1]
	s_delay_alu instid0(VALU_DEP_1) | instskip(NEXT) | instid1(VALU_DEP_2)
	v_xor_b32_e32 v1, v7, v1
	v_xor_b32_e32 v0, v6, v0
	s_delay_alu instid0(VALU_DEP_1) | instskip(NEXT) | instid1(VALU_DEP_1)
	v_lshrrev_b64 v[6:7], 17, v[0:1]
	v_xor_b32_e32 v1, v7, v1
	s_delay_alu instid0(VALU_DEP_2) | instskip(NEXT) | instid1(VALU_DEP_1)
	v_xor_b32_e32 v0, v6, v0
	v_lshlrev_b64 v[6:7], 5, v[0:1]
	s_delay_alu instid0(VALU_DEP_1) | instskip(NEXT) | instid1(VALU_DEP_2)
	v_xor_b32_e32 v1, v7, v1
	v_xor_b32_e32 v0, v6, v0
	s_delay_alu instid0(VALU_DEP_1) | instskip(NEXT) | instid1(VALU_DEP_1)
	v_lshlrev_b64 v[6:7], 13, v[0:1]
	v_xor_b32_e32 v1, v7, v1
	s_delay_alu instid0(VALU_DEP_2) | instskip(SKIP_1) | instid1(VALU_DEP_2)
	v_xor_b32_e32 v0, v6, v0
	v_mov_b32_e32 v7, v2
	v_alignbit_b32 v1, v1, v0, 17
	s_delay_alu instid0(VALU_DEP_1) | instskip(NEXT) | instid1(VALU_DEP_1)
	v_xor_b32_e32 v0, v1, v0
	v_lshlrev_b32_e32 v1, 5, v0
	s_delay_alu instid0(VALU_DEP_1) | instskip(NEXT) | instid1(VALU_DEP_1)
	v_xor_b32_e32 v0, v1, v0
	v_mul_hi_u32 v1, 0xcccccccd, v0
	s_delay_alu instid0(VALU_DEP_1) | instskip(NEXT) | instid1(VALU_DEP_1)
	v_lshrrev_b32_e32 v1, 3, v1
	v_mul_lo_u32 v1, v1, 10
	s_delay_alu instid0(VALU_DEP_1) | instskip(NEXT) | instid1(VALU_DEP_1)
	v_sub_nc_u32_e32 v0, v0, v1
	v_add_nc_u32_e32 v0, 1, v0
	s_delay_alu instid0(VALU_DEP_1) | instskip(NEXT) | instid1(VALU_DEP_1)
	v_cvt_f32_u32_e32 v0, v0
	v_and_b32_e32 v6, 0x7f800000, v0
	v_and_b32_e32 v1, 0x7fffff, v0
	s_delay_alu instid0(VALU_DEP_2) | instskip(SKIP_1) | instid1(SALU_CYCLE_1)
	v_cmp_ne_u64_e32 vcc_lo, 0x7f800000, v[6:7]
                                        ; implicit-def: $vgpr6
	s_and_saveexec_b32 s0, vcc_lo
	s_xor_b32 s6, exec_lo, s0
	s_cbranch_execz .LBB79_11
; %bb.2:
	v_mov_b32_e32 v6, 0x7b
	s_mov_b32 s7, exec_lo
	v_cmpx_gt_u32_e32 0x47600001, v0
	s_cbranch_execz .LBB79_10
; %bb.3:
	v_lshrrev_b32_e32 v12, 23, v0
	v_cmp_gt_u32_e32 vcc_lo, 0x800000, v0
	s_delay_alu instid0(VALU_DEP_2) | instskip(NEXT) | instid1(VALU_DEP_1)
	v_sub_nc_u32_e64 v3, 0x71, v12 clamp
	v_cndmask_b32_e64 v0, v3, 0x70, vcc_lo
	v_or_b32_e32 v3, 0x800000, v1
	s_delay_alu instid0(VALU_DEP_1) | instskip(SKIP_1) | instid1(VALU_DEP_2)
	v_dual_cndmask_b32 v1, v3, v1 :: v_dual_add_nc_u32 v6, 21, v0
	v_dual_mov_b32 v3, 0 :: v_dual_add_nc_u32 v10, 20, v0
	v_lshlrev_b64 v[6:7], v6, -1
	s_delay_alu instid0(VALU_DEP_3) | instskip(NEXT) | instid1(VALU_DEP_2)
	v_lshrrev_b64 v[8:9], v0, v[1:2]
	v_not_b32_e32 v11, v7
	s_delay_alu instid0(VALU_DEP_3) | instskip(SKIP_1) | instid1(VALU_DEP_4)
	v_not_b32_e32 v13, v6
	v_lshlrev_b64 v[6:7], v10, 1
	v_and_b32_e32 v2, 0x200000, v8
	s_delay_alu instid0(VALU_DEP_4) | instskip(NEXT) | instid1(VALU_DEP_4)
	v_and_b32_e32 v11, 0, v11
	v_and_b32_e32 v10, v1, v13
	v_add_nc_u32_e32 v1, 0xffffff90, v12
	s_delay_alu instid0(VALU_DEP_4) | instskip(SKIP_1) | instid1(VALU_DEP_4)
	v_cmp_eq_u64_e64 s0, 0, v[2:3]
	v_lshrrev_b32_e32 v2, 23, v8
	v_cmp_eq_u64_e64 s1, v[10:11], v[6:7]
	s_delay_alu instid0(VALU_DEP_4) | instskip(NEXT) | instid1(VALU_DEP_1)
	v_cndmask_b32_e64 v1, v1, 0xffffff91, vcc_lo
	v_add3_u32 v6, v1, v0, v2
	s_delay_alu instid0(VALU_DEP_3) | instskip(SKIP_2) | instid1(VALU_DEP_1)
	s_and_b32 vcc_lo, s0, s1
	s_mov_b32 s0, exec_lo
	v_subrev_co_ci_u32_e32 v7, vcc_lo, 0, v8, vcc_lo
                                        ; implicit-def: $vgpr2
	v_and_b32_e32 v0, 0x1fffff, v7
	v_add_nc_u32_e32 v7, -1, v6
	s_delay_alu instid0(VALU_DEP_2) | instskip(SKIP_1) | instid1(VALU_DEP_3)
	v_add_co_u32 v0, vcc_lo, v0, v8
	v_add_co_ci_u32_e32 v1, vcc_lo, 0, v9, vcc_lo
	v_cmpx_ne_u32_e32 0, v7
	s_xor_b32 s0, exec_lo, s0
; %bb.4:
	s_delay_alu instid0(VALU_DEP_3) | instskip(SKIP_1) | instid1(VALU_DEP_2)
	v_and_b32_e32 v2, 0x1000000, v0
	v_bfe_u32 v8, v0, 24, 1
	v_cmp_eq_u64_e32 vcc_lo, 0, v[2:3]
	s_delay_alu instid0(VALU_DEP_2)
	v_lshrrev_b64 v[0:1], v8, v[0:1]
	v_cndmask_b32_e32 v2, v6, v7, vcc_lo
; %bb.5:
	s_and_not1_saveexec_b32 s0, s0
; %bb.6:
	s_delay_alu instid0(VALU_DEP_2)
	v_bfe_u32 v2, v0, 23, 1
; %bb.7:
	s_or_b32 exec_lo, exec_lo, s0
	s_delay_alu instid0(VALU_DEP_3) | instskip(NEXT) | instid1(VALU_DEP_2)
	v_lshrrev_b64 v[0:1], 21, v[0:1]
	v_cmp_gt_i32_e32 vcc_lo, 32, v2
	v_cmp_ne_u32_e64 s0, 0, v2
	s_delay_alu instid0(VALU_DEP_3) | instskip(NEXT) | instid1(VALU_DEP_4)
	v_dual_mov_b32 v6, 0 :: v_dual_cndmask_b32 v1, 0, v1
	v_cndmask_b32_e32 v0, 3, v0, vcc_lo
	s_delay_alu instid0(VALU_DEP_1) | instskip(NEXT) | instid1(VALU_DEP_4)
	v_cmp_ne_u64_e32 vcc_lo, 0, v[0:1]
	s_or_b32 s1, s0, vcc_lo
	s_delay_alu instid0(SALU_CYCLE_1)
	s_and_saveexec_b32 s0, s1
; %bb.8:
	v_min_i32_e32 v1, 31, v2
	s_delay_alu instid0(VALU_DEP_1) | instskip(NEXT) | instid1(VALU_DEP_1)
	v_lshlrev_b32_e32 v1, 2, v1
	v_and_or_b32 v6, v0, 3, v1
; %bb.9:
	s_or_b32 exec_lo, exec_lo, s0
.LBB79_10:
	s_delay_alu instid0(SALU_CYCLE_1)
	s_or_b32 exec_lo, exec_lo, s7
                                        ; implicit-def: $vgpr1_vgpr2
.LBB79_11:
	s_and_not1_saveexec_b32 s0, s6
; %bb.12:
	v_cmp_eq_u64_e32 vcc_lo, 0, v[1:2]
	v_mov_b32_e32 v0, 0x7b
	s_delay_alu instid0(VALU_DEP_1)
	v_cndmask_b32_e32 v6, 0x7f, v0, vcc_lo
; %bb.13:
	s_or_b32 exec_lo, exec_lo, s0
	v_or_b32_e32 v1, s11, v5
	v_mov_b32_e32 v0, 0
	s_delay_alu instid0(VALU_DEP_1) | instskip(SKIP_1) | instid1(SALU_CYCLE_1)
	v_cmp_ne_u64_e32 vcc_lo, 0, v[0:1]
                                        ; implicit-def: $vgpr0_vgpr1
	s_and_saveexec_b32 s0, vcc_lo
	s_xor_b32 s1, exec_lo, s0
	s_cbranch_execz .LBB79_15
; %bb.14:
	v_cvt_f32_u32_e32 v0, s10
	v_cvt_f32_u32_e32 v1, s11
	s_sub_u32 s0, 0, s10
	s_subb_u32 s6, 0, s11
	s_delay_alu instid0(VALU_DEP_1) | instskip(NEXT) | instid1(VALU_DEP_1)
	v_fmamk_f32 v0, v1, 0x4f800000, v0
	v_rcp_f32_e32 v0, v0
	s_waitcnt_depctr 0xfff
	v_mul_f32_e32 v0, 0x5f7ffffc, v0
	s_delay_alu instid0(VALU_DEP_1) | instskip(NEXT) | instid1(VALU_DEP_1)
	v_mul_f32_e32 v1, 0x2f800000, v0
	v_trunc_f32_e32 v1, v1
	s_delay_alu instid0(VALU_DEP_1) | instskip(SKIP_1) | instid1(VALU_DEP_2)
	v_fmamk_f32 v0, v1, 0xcf800000, v0
	v_cvt_u32_f32_e32 v1, v1
	v_cvt_u32_f32_e32 v0, v0
	s_delay_alu instid0(VALU_DEP_2) | instskip(NEXT) | instid1(VALU_DEP_2)
	v_mul_lo_u32 v2, s0, v1
	v_mul_hi_u32 v3, s0, v0
	v_mul_lo_u32 v7, s6, v0
	s_delay_alu instid0(VALU_DEP_2) | instskip(SKIP_1) | instid1(VALU_DEP_2)
	v_add_nc_u32_e32 v2, v3, v2
	v_mul_lo_u32 v3, s0, v0
	v_add_nc_u32_e32 v2, v2, v7
	s_delay_alu instid0(VALU_DEP_2) | instskip(NEXT) | instid1(VALU_DEP_2)
	v_mul_hi_u32 v7, v0, v3
	v_mul_lo_u32 v8, v0, v2
	v_mul_hi_u32 v9, v0, v2
	v_mul_hi_u32 v10, v1, v3
	v_mul_lo_u32 v3, v1, v3
	v_mul_hi_u32 v11, v1, v2
	v_mul_lo_u32 v2, v1, v2
	v_add_co_u32 v7, vcc_lo, v7, v8
	v_add_co_ci_u32_e32 v8, vcc_lo, 0, v9, vcc_lo
	s_delay_alu instid0(VALU_DEP_2) | instskip(NEXT) | instid1(VALU_DEP_2)
	v_add_co_u32 v3, vcc_lo, v7, v3
	v_add_co_ci_u32_e32 v3, vcc_lo, v8, v10, vcc_lo
	v_add_co_ci_u32_e32 v7, vcc_lo, 0, v11, vcc_lo
	s_delay_alu instid0(VALU_DEP_2) | instskip(NEXT) | instid1(VALU_DEP_2)
	v_add_co_u32 v2, vcc_lo, v3, v2
	v_add_co_ci_u32_e32 v3, vcc_lo, 0, v7, vcc_lo
	s_delay_alu instid0(VALU_DEP_2) | instskip(NEXT) | instid1(VALU_DEP_2)
	v_add_co_u32 v0, vcc_lo, v0, v2
	v_add_co_ci_u32_e32 v1, vcc_lo, v1, v3, vcc_lo
	s_delay_alu instid0(VALU_DEP_2) | instskip(SKIP_1) | instid1(VALU_DEP_3)
	v_mul_hi_u32 v2, s0, v0
	v_mul_lo_u32 v7, s6, v0
	v_mul_lo_u32 v3, s0, v1
	s_delay_alu instid0(VALU_DEP_1) | instskip(SKIP_1) | instid1(VALU_DEP_2)
	v_add_nc_u32_e32 v2, v2, v3
	v_mul_lo_u32 v3, s0, v0
	v_add_nc_u32_e32 v2, v2, v7
	s_delay_alu instid0(VALU_DEP_2) | instskip(NEXT) | instid1(VALU_DEP_2)
	v_mul_hi_u32 v7, v0, v3
	v_mul_lo_u32 v8, v0, v2
	v_mul_hi_u32 v9, v0, v2
	v_mul_hi_u32 v10, v1, v3
	v_mul_lo_u32 v3, v1, v3
	v_mul_hi_u32 v11, v1, v2
	v_mul_lo_u32 v2, v1, v2
	v_add_co_u32 v7, vcc_lo, v7, v8
	v_add_co_ci_u32_e32 v8, vcc_lo, 0, v9, vcc_lo
	s_delay_alu instid0(VALU_DEP_2) | instskip(NEXT) | instid1(VALU_DEP_2)
	v_add_co_u32 v3, vcc_lo, v7, v3
	v_add_co_ci_u32_e32 v3, vcc_lo, v8, v10, vcc_lo
	v_add_co_ci_u32_e32 v7, vcc_lo, 0, v11, vcc_lo
	s_delay_alu instid0(VALU_DEP_2) | instskip(NEXT) | instid1(VALU_DEP_2)
	v_add_co_u32 v2, vcc_lo, v3, v2
	v_add_co_ci_u32_e32 v3, vcc_lo, 0, v7, vcc_lo
	s_delay_alu instid0(VALU_DEP_2) | instskip(NEXT) | instid1(VALU_DEP_2)
	v_add_co_u32 v7, vcc_lo, v0, v2
	v_add_co_ci_u32_e32 v9, vcc_lo, v1, v3, vcc_lo
	s_delay_alu instid0(VALU_DEP_2) | instskip(SKIP_1) | instid1(VALU_DEP_3)
	v_mul_hi_u32 v10, v4, v7
	v_mad_u64_u32 v[2:3], null, v5, v7, 0
	v_mad_u64_u32 v[0:1], null, v4, v9, 0
	;; [unrolled: 1-line block ×3, first 2 shown]
	s_delay_alu instid0(VALU_DEP_2) | instskip(NEXT) | instid1(VALU_DEP_3)
	v_add_co_u32 v0, vcc_lo, v10, v0
	v_add_co_ci_u32_e32 v1, vcc_lo, 0, v1, vcc_lo
	s_delay_alu instid0(VALU_DEP_2) | instskip(NEXT) | instid1(VALU_DEP_2)
	v_add_co_u32 v0, vcc_lo, v0, v2
	v_add_co_ci_u32_e32 v0, vcc_lo, v1, v3, vcc_lo
	v_add_co_ci_u32_e32 v1, vcc_lo, 0, v8, vcc_lo
	s_delay_alu instid0(VALU_DEP_2) | instskip(NEXT) | instid1(VALU_DEP_2)
	v_add_co_u32 v2, vcc_lo, v0, v7
	v_add_co_ci_u32_e32 v3, vcc_lo, 0, v1, vcc_lo
	s_delay_alu instid0(VALU_DEP_2) | instskip(SKIP_1) | instid1(VALU_DEP_3)
	v_mul_lo_u32 v7, s11, v2
	v_mad_u64_u32 v[0:1], null, s10, v2, 0
	v_mul_lo_u32 v2, s10, v3
	s_delay_alu instid0(VALU_DEP_2) | instskip(NEXT) | instid1(VALU_DEP_2)
	v_sub_co_u32 v0, vcc_lo, v4, v0
	v_add3_u32 v1, v1, v2, v7
	s_delay_alu instid0(VALU_DEP_1) | instskip(NEXT) | instid1(VALU_DEP_1)
	v_sub_nc_u32_e32 v2, v5, v1
	v_subrev_co_ci_u32_e64 v2, s0, s11, v2, vcc_lo
	v_sub_co_ci_u32_e32 v1, vcc_lo, v5, v1, vcc_lo
	v_sub_co_u32 v3, vcc_lo, v0, s10
	s_delay_alu instid0(VALU_DEP_1) | instskip(SKIP_3) | instid1(VALU_DEP_3)
	v_subrev_co_ci_u32_e64 v7, s0, 0, v2, vcc_lo
	v_cmp_le_u32_e64 s0, s10, v0
	v_subrev_co_ci_u32_e32 v2, vcc_lo, s11, v2, vcc_lo
	v_cmp_le_u32_e32 vcc_lo, s11, v1
	v_cndmask_b32_e64 v8, 0, -1, s0
	v_cmp_le_u32_e64 s0, s10, v3
	v_cndmask_b32_e64 v11, 0, -1, vcc_lo
	v_cmp_eq_u32_e32 vcc_lo, s11, v7
	s_delay_alu instid0(VALU_DEP_3) | instskip(SKIP_1) | instid1(VALU_DEP_1)
	v_cndmask_b32_e64 v9, 0, -1, s0
	v_cmp_le_u32_e64 s0, s11, v7
	v_cndmask_b32_e64 v10, 0, -1, s0
	v_cmp_eq_u32_e64 s0, s11, v1
	s_delay_alu instid0(VALU_DEP_2) | instskip(SKIP_2) | instid1(VALU_DEP_3)
	v_cndmask_b32_e32 v9, v10, v9, vcc_lo
	v_sub_co_u32 v10, vcc_lo, v3, s10
	v_subrev_co_ci_u32_e32 v2, vcc_lo, 0, v2, vcc_lo
	v_cmp_ne_u32_e32 vcc_lo, 0, v9
	v_cndmask_b32_e64 v8, v11, v8, s0
	s_delay_alu instid0(VALU_DEP_3) | instskip(SKIP_1) | instid1(VALU_DEP_3)
	v_cndmask_b32_e32 v2, v7, v2, vcc_lo
	v_cndmask_b32_e32 v3, v3, v10, vcc_lo
	v_cmp_ne_u32_e32 vcc_lo, 0, v8
	s_delay_alu instid0(VALU_DEP_2)
	v_dual_cndmask_b32 v1, v1, v2 :: v_dual_cndmask_b32 v0, v0, v3
.LBB79_15:
	s_and_not1_saveexec_b32 s0, s1
	s_cbranch_execz .LBB79_17
; %bb.16:
	v_cvt_f32_u32_e32 v0, s10
	s_sub_i32 s1, 0, s10
	s_delay_alu instid0(VALU_DEP_1) | instskip(SKIP_2) | instid1(VALU_DEP_1)
	v_rcp_iflag_f32_e32 v0, v0
	s_waitcnt_depctr 0xfff
	v_mul_f32_e32 v0, 0x4f7ffffe, v0
	v_cvt_u32_f32_e32 v0, v0
	s_delay_alu instid0(VALU_DEP_1) | instskip(NEXT) | instid1(VALU_DEP_1)
	v_mul_lo_u32 v1, s1, v0
	v_mul_hi_u32 v1, v0, v1
	s_delay_alu instid0(VALU_DEP_1) | instskip(NEXT) | instid1(VALU_DEP_1)
	v_add_nc_u32_e32 v0, v0, v1
	v_mul_hi_u32 v0, v4, v0
	s_delay_alu instid0(VALU_DEP_1) | instskip(NEXT) | instid1(VALU_DEP_1)
	v_mul_lo_u32 v0, v0, s10
	v_sub_nc_u32_e32 v0, v4, v0
	s_delay_alu instid0(VALU_DEP_1) | instskip(SKIP_1) | instid1(VALU_DEP_2)
	v_subrev_nc_u32_e32 v1, s10, v0
	v_cmp_le_u32_e32 vcc_lo, s10, v0
	v_cndmask_b32_e32 v0, v0, v1, vcc_lo
	s_delay_alu instid0(VALU_DEP_1) | instskip(SKIP_1) | instid1(VALU_DEP_2)
	v_subrev_nc_u32_e32 v1, s10, v0
	v_cmp_le_u32_e32 vcc_lo, s10, v0
	v_dual_cndmask_b32 v0, v0, v1 :: v_dual_mov_b32 v1, 0
.LBB79_17:
	s_or_b32 exec_lo, exec_lo, s0
	s_waitcnt lgkmcnt(0)
	s_delay_alu instid0(VALU_DEP_1) | instskip(SKIP_1) | instid1(VALU_DEP_1)
	v_or_b32_e32 v3, s3, v1
	v_mov_b32_e32 v2, 0
	v_cmp_ne_u64_e32 vcc_lo, 0, v[2:3]
                                        ; implicit-def: $vgpr2_vgpr3
	s_and_saveexec_b32 s0, vcc_lo
	s_delay_alu instid0(SALU_CYCLE_1)
	s_xor_b32 s1, exec_lo, s0
	s_cbranch_execz .LBB79_19
; %bb.18:
	v_cvt_f32_u32_e32 v2, s2
	v_cvt_f32_u32_e32 v3, s3
	s_sub_u32 s0, 0, s2
	s_subb_u32 s6, 0, s3
	s_delay_alu instid0(VALU_DEP_1) | instskip(NEXT) | instid1(VALU_DEP_1)
	v_fmamk_f32 v2, v3, 0x4f800000, v2
	v_rcp_f32_e32 v2, v2
	s_waitcnt_depctr 0xfff
	v_mul_f32_e32 v2, 0x5f7ffffc, v2
	s_delay_alu instid0(VALU_DEP_1) | instskip(NEXT) | instid1(VALU_DEP_1)
	v_mul_f32_e32 v3, 0x2f800000, v2
	v_trunc_f32_e32 v3, v3
	s_delay_alu instid0(VALU_DEP_1) | instskip(SKIP_1) | instid1(VALU_DEP_2)
	v_fmamk_f32 v2, v3, 0xcf800000, v2
	v_cvt_u32_f32_e32 v3, v3
	v_cvt_u32_f32_e32 v2, v2
	s_delay_alu instid0(VALU_DEP_2) | instskip(NEXT) | instid1(VALU_DEP_2)
	v_mul_lo_u32 v7, s0, v3
	v_mul_hi_u32 v8, s0, v2
	v_mul_lo_u32 v9, s6, v2
	s_delay_alu instid0(VALU_DEP_2) | instskip(SKIP_1) | instid1(VALU_DEP_2)
	v_add_nc_u32_e32 v7, v8, v7
	v_mul_lo_u32 v8, s0, v2
	v_add_nc_u32_e32 v7, v7, v9
	s_delay_alu instid0(VALU_DEP_2) | instskip(NEXT) | instid1(VALU_DEP_2)
	v_mul_hi_u32 v9, v2, v8
	v_mul_lo_u32 v10, v2, v7
	v_mul_hi_u32 v11, v2, v7
	v_mul_hi_u32 v12, v3, v8
	v_mul_lo_u32 v8, v3, v8
	v_mul_hi_u32 v13, v3, v7
	v_mul_lo_u32 v7, v3, v7
	v_add_co_u32 v9, vcc_lo, v9, v10
	v_add_co_ci_u32_e32 v10, vcc_lo, 0, v11, vcc_lo
	s_delay_alu instid0(VALU_DEP_2) | instskip(NEXT) | instid1(VALU_DEP_2)
	v_add_co_u32 v8, vcc_lo, v9, v8
	v_add_co_ci_u32_e32 v8, vcc_lo, v10, v12, vcc_lo
	v_add_co_ci_u32_e32 v9, vcc_lo, 0, v13, vcc_lo
	s_delay_alu instid0(VALU_DEP_2) | instskip(NEXT) | instid1(VALU_DEP_2)
	v_add_co_u32 v7, vcc_lo, v8, v7
	v_add_co_ci_u32_e32 v8, vcc_lo, 0, v9, vcc_lo
	s_delay_alu instid0(VALU_DEP_2) | instskip(NEXT) | instid1(VALU_DEP_2)
	v_add_co_u32 v2, vcc_lo, v2, v7
	v_add_co_ci_u32_e32 v3, vcc_lo, v3, v8, vcc_lo
	s_delay_alu instid0(VALU_DEP_2) | instskip(SKIP_1) | instid1(VALU_DEP_3)
	v_mul_hi_u32 v7, s0, v2
	v_mul_lo_u32 v9, s6, v2
	v_mul_lo_u32 v8, s0, v3
	s_delay_alu instid0(VALU_DEP_1) | instskip(SKIP_1) | instid1(VALU_DEP_2)
	v_add_nc_u32_e32 v7, v7, v8
	v_mul_lo_u32 v8, s0, v2
	v_add_nc_u32_e32 v7, v7, v9
	s_delay_alu instid0(VALU_DEP_2) | instskip(NEXT) | instid1(VALU_DEP_2)
	v_mul_hi_u32 v9, v2, v8
	v_mul_lo_u32 v10, v2, v7
	v_mul_hi_u32 v11, v2, v7
	v_mul_hi_u32 v12, v3, v8
	v_mul_lo_u32 v8, v3, v8
	v_mul_hi_u32 v13, v3, v7
	v_mul_lo_u32 v7, v3, v7
	v_add_co_u32 v9, vcc_lo, v9, v10
	v_add_co_ci_u32_e32 v10, vcc_lo, 0, v11, vcc_lo
	s_delay_alu instid0(VALU_DEP_2) | instskip(NEXT) | instid1(VALU_DEP_2)
	v_add_co_u32 v8, vcc_lo, v9, v8
	v_add_co_ci_u32_e32 v8, vcc_lo, v10, v12, vcc_lo
	v_add_co_ci_u32_e32 v9, vcc_lo, 0, v13, vcc_lo
	s_delay_alu instid0(VALU_DEP_2) | instskip(NEXT) | instid1(VALU_DEP_2)
	v_add_co_u32 v7, vcc_lo, v8, v7
	v_add_co_ci_u32_e32 v8, vcc_lo, 0, v9, vcc_lo
	s_delay_alu instid0(VALU_DEP_2) | instskip(NEXT) | instid1(VALU_DEP_2)
	v_add_co_u32 v9, vcc_lo, v2, v7
	v_add_co_ci_u32_e32 v11, vcc_lo, v3, v8, vcc_lo
	s_delay_alu instid0(VALU_DEP_2) | instskip(SKIP_1) | instid1(VALU_DEP_3)
	v_mul_hi_u32 v12, v0, v9
	v_mad_u64_u32 v[7:8], null, v1, v9, 0
	v_mad_u64_u32 v[2:3], null, v0, v11, 0
	;; [unrolled: 1-line block ×3, first 2 shown]
	s_delay_alu instid0(VALU_DEP_2) | instskip(NEXT) | instid1(VALU_DEP_3)
	v_add_co_u32 v2, vcc_lo, v12, v2
	v_add_co_ci_u32_e32 v3, vcc_lo, 0, v3, vcc_lo
	s_delay_alu instid0(VALU_DEP_2) | instskip(NEXT) | instid1(VALU_DEP_2)
	v_add_co_u32 v2, vcc_lo, v2, v7
	v_add_co_ci_u32_e32 v2, vcc_lo, v3, v8, vcc_lo
	v_add_co_ci_u32_e32 v3, vcc_lo, 0, v10, vcc_lo
	s_delay_alu instid0(VALU_DEP_2) | instskip(NEXT) | instid1(VALU_DEP_2)
	v_add_co_u32 v7, vcc_lo, v2, v9
	v_add_co_ci_u32_e32 v8, vcc_lo, 0, v3, vcc_lo
	s_delay_alu instid0(VALU_DEP_2) | instskip(SKIP_1) | instid1(VALU_DEP_3)
	v_mul_lo_u32 v9, s3, v7
	v_mad_u64_u32 v[2:3], null, s2, v7, 0
	v_mul_lo_u32 v8, s2, v8
	s_delay_alu instid0(VALU_DEP_2) | instskip(NEXT) | instid1(VALU_DEP_2)
	v_sub_co_u32 v2, vcc_lo, v0, v2
	v_add3_u32 v3, v3, v8, v9
	v_add_co_u32 v9, s0, v7, 2
	s_delay_alu instid0(VALU_DEP_2) | instskip(NEXT) | instid1(VALU_DEP_1)
	v_sub_nc_u32_e32 v8, v1, v3
	v_subrev_co_ci_u32_e64 v8, s0, s3, v8, vcc_lo
	v_sub_co_u32 v10, s0, v2, s2
	v_sub_co_ci_u32_e32 v1, vcc_lo, v1, v3, vcc_lo
	s_delay_alu instid0(VALU_DEP_3) | instskip(NEXT) | instid1(VALU_DEP_3)
	v_subrev_co_ci_u32_e64 v8, s0, 0, v8, s0
	v_cmp_le_u32_e32 vcc_lo, s2, v10
	v_cndmask_b32_e64 v3, 0, -1, vcc_lo
	s_delay_alu instid0(VALU_DEP_3)
	v_cmp_le_u32_e32 vcc_lo, s3, v8
	v_cndmask_b32_e64 v10, 0, -1, vcc_lo
	v_cmp_le_u32_e32 vcc_lo, s2, v2
	v_cndmask_b32_e64 v2, 0, -1, vcc_lo
	v_cmp_le_u32_e32 vcc_lo, s3, v1
	v_cndmask_b32_e64 v11, 0, -1, vcc_lo
	v_cmp_eq_u32_e32 vcc_lo, s3, v8
	v_cndmask_b32_e32 v3, v10, v3, vcc_lo
	v_add_co_u32 v8, vcc_lo, v7, 1
	v_cmp_eq_u32_e32 vcc_lo, s3, v1
	v_cndmask_b32_e32 v1, v11, v2, vcc_lo
	s_delay_alu instid0(VALU_DEP_4) | instskip(NEXT) | instid1(VALU_DEP_4)
	v_cmp_ne_u32_e32 vcc_lo, 0, v3
	v_cndmask_b32_e32 v2, v8, v9, vcc_lo
	s_delay_alu instid0(VALU_DEP_3) | instskip(NEXT) | instid1(VALU_DEP_2)
	v_cmp_ne_u32_e32 vcc_lo, 0, v1
	v_cndmask_b32_e32 v2, v7, v2, vcc_lo
.LBB79_19:
	s_and_not1_saveexec_b32 s0, s1
	s_cbranch_execz .LBB79_21
; %bb.20:
	v_cvt_f32_u32_e32 v1, s2
	s_sub_i32 s1, 0, s2
	s_delay_alu instid0(VALU_DEP_1) | instskip(SKIP_2) | instid1(VALU_DEP_1)
	v_rcp_iflag_f32_e32 v1, v1
	s_waitcnt_depctr 0xfff
	v_mul_f32_e32 v1, 0x4f7ffffe, v1
	v_cvt_u32_f32_e32 v1, v1
	s_delay_alu instid0(VALU_DEP_1) | instskip(NEXT) | instid1(VALU_DEP_1)
	v_mul_lo_u32 v2, s1, v1
	v_mul_hi_u32 v2, v1, v2
	s_delay_alu instid0(VALU_DEP_1) | instskip(NEXT) | instid1(VALU_DEP_1)
	v_add_nc_u32_e32 v1, v1, v2
	v_mul_hi_u32 v1, v0, v1
	s_delay_alu instid0(VALU_DEP_1) | instskip(SKIP_1) | instid1(VALU_DEP_2)
	v_mul_lo_u32 v2, v1, s2
	v_add_nc_u32_e32 v3, 1, v1
	v_sub_nc_u32_e32 v2, v0, v2
	s_delay_alu instid0(VALU_DEP_1) | instskip(SKIP_1) | instid1(VALU_DEP_2)
	v_subrev_nc_u32_e32 v7, s2, v2
	v_cmp_le_u32_e32 vcc_lo, s2, v2
	v_cndmask_b32_e32 v2, v2, v7, vcc_lo
	v_cndmask_b32_e32 v1, v1, v3, vcc_lo
	s_delay_alu instid0(VALU_DEP_2) | instskip(NEXT) | instid1(VALU_DEP_2)
	v_cmp_le_u32_e32 vcc_lo, s2, v2
	v_add_nc_u32_e32 v3, 1, v1
	s_delay_alu instid0(VALU_DEP_1)
	v_cndmask_b32_e32 v2, v1, v3, vcc_lo
.LBB79_21:
	s_or_b32 exec_lo, exec_lo, s0
	s_delay_alu instid0(VALU_DEP_1) | instskip(NEXT) | instid1(VALU_DEP_1)
	v_mul_lo_u32 v1, v2, s2
	v_sub_nc_u32_e32 v0, v0, v1
	v_xor_b32_e32 v1, 0x80, v6
	s_delay_alu instid0(VALU_DEP_2) | instskip(NEXT) | instid1(VALU_DEP_1)
	v_xor_b32_e32 v0, v0, v2
	v_and_b32_e32 v0, 1, v0
	s_delay_alu instid0(VALU_DEP_1) | instskip(NEXT) | instid1(VALU_DEP_4)
	v_cmp_eq_u32_e32 vcc_lo, 0, v0
	v_cndmask_b32_e32 v2, v6, v1, vcc_lo
	v_add_co_u32 v0, vcc_lo, s4, v4
	v_add_co_ci_u32_e32 v1, vcc_lo, s5, v5, vcc_lo
	global_store_b8 v[0:1], v2, off
.LBB79_22:
	s_nop 0
	s_sendmsg sendmsg(MSG_DEALLOC_VGPRS)
	s_endpgm
	.section	.rodata,"a",@progbits
	.p2align	6, 0x0
	.amdhsa_kernel _Z11fill_kernelI13hipblaslt_bf8Z21hipblaslt_init_deviceIS0_Ev8ABC_dims24hipblaslt_initializationbPT_mmmmmEUlmE1_EvS5_mmT0_
		.amdhsa_group_segment_fixed_size 0
		.amdhsa_private_segment_fixed_size 0
		.amdhsa_kernarg_size 296
		.amdhsa_user_sgpr_count 15
		.amdhsa_user_sgpr_dispatch_ptr 0
		.amdhsa_user_sgpr_queue_ptr 0
		.amdhsa_user_sgpr_kernarg_segment_ptr 1
		.amdhsa_user_sgpr_dispatch_id 0
		.amdhsa_user_sgpr_private_segment_size 0
		.amdhsa_wavefront_size32 1
		.amdhsa_uses_dynamic_stack 0
		.amdhsa_enable_private_segment 0
		.amdhsa_system_sgpr_workgroup_id_x 1
		.amdhsa_system_sgpr_workgroup_id_y 0
		.amdhsa_system_sgpr_workgroup_id_z 0
		.amdhsa_system_sgpr_workgroup_info 0
		.amdhsa_system_vgpr_workitem_id 0
		.amdhsa_next_free_vgpr 14
		.amdhsa_next_free_sgpr 16
		.amdhsa_reserve_vcc 1
		.amdhsa_float_round_mode_32 0
		.amdhsa_float_round_mode_16_64 0
		.amdhsa_float_denorm_mode_32 3
		.amdhsa_float_denorm_mode_16_64 3
		.amdhsa_dx10_clamp 1
		.amdhsa_ieee_mode 1
		.amdhsa_fp16_overflow 0
		.amdhsa_workgroup_processor_mode 1
		.amdhsa_memory_ordered 1
		.amdhsa_forward_progress 0
		.amdhsa_shared_vgpr_count 0
		.amdhsa_exception_fp_ieee_invalid_op 0
		.amdhsa_exception_fp_denorm_src 0
		.amdhsa_exception_fp_ieee_div_zero 0
		.amdhsa_exception_fp_ieee_overflow 0
		.amdhsa_exception_fp_ieee_underflow 0
		.amdhsa_exception_fp_ieee_inexact 0
		.amdhsa_exception_int_div_zero 0
	.end_amdhsa_kernel
	.section	.text._Z11fill_kernelI13hipblaslt_bf8Z21hipblaslt_init_deviceIS0_Ev8ABC_dims24hipblaslt_initializationbPT_mmmmmEUlmE1_EvS5_mmT0_,"axG",@progbits,_Z11fill_kernelI13hipblaslt_bf8Z21hipblaslt_init_deviceIS0_Ev8ABC_dims24hipblaslt_initializationbPT_mmmmmEUlmE1_EvS5_mmT0_,comdat
.Lfunc_end79:
	.size	_Z11fill_kernelI13hipblaslt_bf8Z21hipblaslt_init_deviceIS0_Ev8ABC_dims24hipblaslt_initializationbPT_mmmmmEUlmE1_EvS5_mmT0_, .Lfunc_end79-_Z11fill_kernelI13hipblaslt_bf8Z21hipblaslt_init_deviceIS0_Ev8ABC_dims24hipblaslt_initializationbPT_mmmmmEUlmE1_EvS5_mmT0_
                                        ; -- End function
	.section	.AMDGPU.csdata,"",@progbits
; Kernel info:
; codeLenInByte = 2720
; NumSgprs: 18
; NumVgprs: 14
; ScratchSize: 0
; MemoryBound: 0
; FloatMode: 240
; IeeeMode: 1
; LDSByteSize: 0 bytes/workgroup (compile time only)
; SGPRBlocks: 2
; VGPRBlocks: 1
; NumSGPRsForWavesPerEU: 18
; NumVGPRsForWavesPerEU: 14
; Occupancy: 16
; WaveLimiterHint : 0
; COMPUTE_PGM_RSRC2:SCRATCH_EN: 0
; COMPUTE_PGM_RSRC2:USER_SGPR: 15
; COMPUTE_PGM_RSRC2:TRAP_HANDLER: 0
; COMPUTE_PGM_RSRC2:TGID_X_EN: 1
; COMPUTE_PGM_RSRC2:TGID_Y_EN: 0
; COMPUTE_PGM_RSRC2:TGID_Z_EN: 0
; COMPUTE_PGM_RSRC2:TIDIG_COMP_CNT: 0
	.section	.text._Z11fill_kernelI13hipblaslt_bf8Z21hipblaslt_init_deviceIS0_Ev8ABC_dims24hipblaslt_initializationbPT_mmmmmEUlmE2_EvS5_mmT0_,"axG",@progbits,_Z11fill_kernelI13hipblaslt_bf8Z21hipblaslt_init_deviceIS0_Ev8ABC_dims24hipblaslt_initializationbPT_mmmmmEUlmE2_EvS5_mmT0_,comdat
	.protected	_Z11fill_kernelI13hipblaslt_bf8Z21hipblaslt_init_deviceIS0_Ev8ABC_dims24hipblaslt_initializationbPT_mmmmmEUlmE2_EvS5_mmT0_ ; -- Begin function _Z11fill_kernelI13hipblaslt_bf8Z21hipblaslt_init_deviceIS0_Ev8ABC_dims24hipblaslt_initializationbPT_mmmmmEUlmE2_EvS5_mmT0_
	.globl	_Z11fill_kernelI13hipblaslt_bf8Z21hipblaslt_init_deviceIS0_Ev8ABC_dims24hipblaslt_initializationbPT_mmmmmEUlmE2_EvS5_mmT0_
	.p2align	8
	.type	_Z11fill_kernelI13hipblaslt_bf8Z21hipblaslt_init_deviceIS0_Ev8ABC_dims24hipblaslt_initializationbPT_mmmmmEUlmE2_EvS5_mmT0_,@function
_Z11fill_kernelI13hipblaslt_bf8Z21hipblaslt_init_deviceIS0_Ev8ABC_dims24hipblaslt_initializationbPT_mmmmmEUlmE2_EvS5_mmT0_: ; @_Z11fill_kernelI13hipblaslt_bf8Z21hipblaslt_init_deviceIS0_Ev8ABC_dims24hipblaslt_initializationbPT_mmmmmEUlmE2_EvS5_mmT0_
; %bb.0:
	s_clause 0x1
	s_load_b32 s2, s[0:1], 0x44
	s_load_b128 s[16:19], s[0:1], 0x0
	s_waitcnt lgkmcnt(0)
	s_and_b32 s2, s2, 0xffff
	s_delay_alu instid0(SALU_CYCLE_1) | instskip(SKIP_2) | instid1(VALU_DEP_1)
	v_mad_u64_u32 v[1:2], null, s15, s2, v[0:1]
	v_mov_b32_e32 v2, 0
	s_mov_b32 s2, exec_lo
	v_cmpx_gt_u64_e64 s[18:19], v[1:2]
	s_cbranch_execz .LBB80_30
; %bb.1:
	s_clause 0x1
	s_load_b64 s[2:3], s[0:1], 0x10
	s_load_b256 s[4:11], s[0:1], 0x18
	v_mov_b32_e32 v0, v2
	s_waitcnt lgkmcnt(0)
	v_add_co_u32 v6, s0, v1, s2
	s_delay_alu instid0(VALU_DEP_1) | instskip(NEXT) | instid1(VALU_DEP_1)
	v_add_co_ci_u32_e64 v7, null, 0, s3, s0
	v_or_b32_e32 v1, s9, v7
	s_delay_alu instid0(VALU_DEP_1) | instskip(SKIP_1) | instid1(SALU_CYCLE_1)
	v_cmp_ne_u64_e32 vcc_lo, 0, v[0:1]
                                        ; implicit-def: $vgpr0_vgpr1
	s_and_saveexec_b32 s0, vcc_lo
	s_xor_b32 s1, exec_lo, s0
	s_cbranch_execz .LBB80_3
; %bb.2:
	v_cvt_f32_u32_e32 v0, s8
	v_cvt_f32_u32_e32 v1, s9
	s_sub_u32 s0, 0, s8
	s_subb_u32 s2, 0, s9
	s_delay_alu instid0(VALU_DEP_1) | instskip(NEXT) | instid1(VALU_DEP_1)
	v_fmamk_f32 v0, v1, 0x4f800000, v0
	v_rcp_f32_e32 v0, v0
	s_waitcnt_depctr 0xfff
	v_mul_f32_e32 v0, 0x5f7ffffc, v0
	s_delay_alu instid0(VALU_DEP_1) | instskip(NEXT) | instid1(VALU_DEP_1)
	v_mul_f32_e32 v1, 0x2f800000, v0
	v_trunc_f32_e32 v1, v1
	s_delay_alu instid0(VALU_DEP_1) | instskip(SKIP_1) | instid1(VALU_DEP_2)
	v_fmamk_f32 v0, v1, 0xcf800000, v0
	v_cvt_u32_f32_e32 v1, v1
	v_cvt_u32_f32_e32 v0, v0
	s_delay_alu instid0(VALU_DEP_2) | instskip(NEXT) | instid1(VALU_DEP_2)
	v_mul_lo_u32 v2, s0, v1
	v_mul_hi_u32 v3, s0, v0
	v_mul_lo_u32 v4, s2, v0
	s_delay_alu instid0(VALU_DEP_2) | instskip(SKIP_1) | instid1(VALU_DEP_2)
	v_add_nc_u32_e32 v2, v3, v2
	v_mul_lo_u32 v3, s0, v0
	v_add_nc_u32_e32 v2, v2, v4
	s_delay_alu instid0(VALU_DEP_2) | instskip(NEXT) | instid1(VALU_DEP_2)
	v_mul_hi_u32 v4, v0, v3
	v_mul_lo_u32 v5, v0, v2
	v_mul_hi_u32 v8, v0, v2
	v_mul_hi_u32 v9, v1, v3
	v_mul_lo_u32 v3, v1, v3
	v_mul_hi_u32 v10, v1, v2
	v_mul_lo_u32 v2, v1, v2
	v_add_co_u32 v4, vcc_lo, v4, v5
	v_add_co_ci_u32_e32 v5, vcc_lo, 0, v8, vcc_lo
	s_delay_alu instid0(VALU_DEP_2) | instskip(NEXT) | instid1(VALU_DEP_2)
	v_add_co_u32 v3, vcc_lo, v4, v3
	v_add_co_ci_u32_e32 v3, vcc_lo, v5, v9, vcc_lo
	v_add_co_ci_u32_e32 v4, vcc_lo, 0, v10, vcc_lo
	s_delay_alu instid0(VALU_DEP_2) | instskip(NEXT) | instid1(VALU_DEP_2)
	v_add_co_u32 v2, vcc_lo, v3, v2
	v_add_co_ci_u32_e32 v3, vcc_lo, 0, v4, vcc_lo
	s_delay_alu instid0(VALU_DEP_2) | instskip(NEXT) | instid1(VALU_DEP_2)
	v_add_co_u32 v0, vcc_lo, v0, v2
	v_add_co_ci_u32_e32 v1, vcc_lo, v1, v3, vcc_lo
	s_delay_alu instid0(VALU_DEP_2) | instskip(SKIP_1) | instid1(VALU_DEP_3)
	v_mul_hi_u32 v2, s0, v0
	v_mul_lo_u32 v4, s2, v0
	v_mul_lo_u32 v3, s0, v1
	s_delay_alu instid0(VALU_DEP_1) | instskip(SKIP_1) | instid1(VALU_DEP_2)
	v_add_nc_u32_e32 v2, v2, v3
	v_mul_lo_u32 v3, s0, v0
	v_add_nc_u32_e32 v2, v2, v4
	s_delay_alu instid0(VALU_DEP_2) | instskip(NEXT) | instid1(VALU_DEP_2)
	v_mul_hi_u32 v4, v0, v3
	v_mul_lo_u32 v5, v0, v2
	v_mul_hi_u32 v8, v0, v2
	v_mul_hi_u32 v9, v1, v3
	v_mul_lo_u32 v3, v1, v3
	v_mul_hi_u32 v10, v1, v2
	v_mul_lo_u32 v2, v1, v2
	v_add_co_u32 v4, vcc_lo, v4, v5
	v_add_co_ci_u32_e32 v5, vcc_lo, 0, v8, vcc_lo
	s_delay_alu instid0(VALU_DEP_2) | instskip(NEXT) | instid1(VALU_DEP_2)
	v_add_co_u32 v3, vcc_lo, v4, v3
	v_add_co_ci_u32_e32 v3, vcc_lo, v5, v9, vcc_lo
	v_add_co_ci_u32_e32 v4, vcc_lo, 0, v10, vcc_lo
	s_delay_alu instid0(VALU_DEP_2) | instskip(NEXT) | instid1(VALU_DEP_2)
	v_add_co_u32 v2, vcc_lo, v3, v2
	v_add_co_ci_u32_e32 v3, vcc_lo, 0, v4, vcc_lo
	s_delay_alu instid0(VALU_DEP_2) | instskip(NEXT) | instid1(VALU_DEP_2)
	v_add_co_u32 v4, vcc_lo, v0, v2
	v_add_co_ci_u32_e32 v8, vcc_lo, v1, v3, vcc_lo
	s_delay_alu instid0(VALU_DEP_2) | instskip(SKIP_1) | instid1(VALU_DEP_3)
	v_mul_hi_u32 v9, v6, v4
	v_mad_u64_u32 v[2:3], null, v7, v4, 0
	v_mad_u64_u32 v[0:1], null, v6, v8, 0
	;; [unrolled: 1-line block ×3, first 2 shown]
	s_delay_alu instid0(VALU_DEP_2) | instskip(NEXT) | instid1(VALU_DEP_3)
	v_add_co_u32 v0, vcc_lo, v9, v0
	v_add_co_ci_u32_e32 v1, vcc_lo, 0, v1, vcc_lo
	s_delay_alu instid0(VALU_DEP_2) | instskip(NEXT) | instid1(VALU_DEP_2)
	v_add_co_u32 v0, vcc_lo, v0, v2
	v_add_co_ci_u32_e32 v0, vcc_lo, v1, v3, vcc_lo
	v_add_co_ci_u32_e32 v1, vcc_lo, 0, v5, vcc_lo
	s_delay_alu instid0(VALU_DEP_2) | instskip(NEXT) | instid1(VALU_DEP_2)
	v_add_co_u32 v2, vcc_lo, v0, v4
	v_add_co_ci_u32_e32 v3, vcc_lo, 0, v1, vcc_lo
	s_delay_alu instid0(VALU_DEP_2) | instskip(SKIP_1) | instid1(VALU_DEP_3)
	v_mul_lo_u32 v4, s9, v2
	v_mad_u64_u32 v[0:1], null, s8, v2, 0
	v_mul_lo_u32 v5, s8, v3
	s_delay_alu instid0(VALU_DEP_2) | instskip(NEXT) | instid1(VALU_DEP_2)
	v_sub_co_u32 v0, vcc_lo, v6, v0
	v_add3_u32 v1, v1, v5, v4
	s_delay_alu instid0(VALU_DEP_1) | instskip(NEXT) | instid1(VALU_DEP_1)
	v_sub_nc_u32_e32 v4, v7, v1
	v_subrev_co_ci_u32_e64 v4, s0, s9, v4, vcc_lo
	v_add_co_u32 v5, s0, v2, 2
	s_delay_alu instid0(VALU_DEP_1) | instskip(SKIP_3) | instid1(VALU_DEP_3)
	v_add_co_ci_u32_e64 v8, s0, 0, v3, s0
	v_sub_co_u32 v9, s0, v0, s8
	v_sub_co_ci_u32_e32 v1, vcc_lo, v7, v1, vcc_lo
	v_subrev_co_ci_u32_e64 v4, s0, 0, v4, s0
	v_cmp_le_u32_e32 vcc_lo, s8, v9
	s_delay_alu instid0(VALU_DEP_3) | instskip(SKIP_1) | instid1(VALU_DEP_4)
	v_cmp_eq_u32_e64 s0, s9, v1
	v_cndmask_b32_e64 v9, 0, -1, vcc_lo
	v_cmp_le_u32_e32 vcc_lo, s9, v4
	v_cndmask_b32_e64 v10, 0, -1, vcc_lo
	v_cmp_le_u32_e32 vcc_lo, s8, v0
	;; [unrolled: 2-line block ×3, first 2 shown]
	v_cndmask_b32_e64 v11, 0, -1, vcc_lo
	v_cmp_eq_u32_e32 vcc_lo, s9, v4
	s_delay_alu instid0(VALU_DEP_2) | instskip(SKIP_3) | instid1(VALU_DEP_3)
	v_cndmask_b32_e64 v0, v11, v0, s0
	v_cndmask_b32_e32 v4, v10, v9, vcc_lo
	v_add_co_u32 v9, vcc_lo, v2, 1
	v_add_co_ci_u32_e32 v10, vcc_lo, 0, v3, vcc_lo
	v_cmp_ne_u32_e32 vcc_lo, 0, v4
	s_delay_alu instid0(VALU_DEP_2) | instskip(SKIP_1) | instid1(VALU_DEP_2)
	v_dual_cndmask_b32 v1, v10, v8 :: v_dual_cndmask_b32 v4, v9, v5
	v_cmp_ne_u32_e32 vcc_lo, 0, v0
	v_dual_cndmask_b32 v1, v3, v1 :: v_dual_cndmask_b32 v0, v2, v4
.LBB80_3:
	s_and_not1_saveexec_b32 s0, s1
	s_cbranch_execz .LBB80_5
; %bb.4:
	v_cvt_f32_u32_e32 v0, s8
	s_sub_i32 s1, 0, s8
	s_delay_alu instid0(VALU_DEP_1) | instskip(SKIP_2) | instid1(VALU_DEP_1)
	v_rcp_iflag_f32_e32 v0, v0
	s_waitcnt_depctr 0xfff
	v_mul_f32_e32 v0, 0x4f7ffffe, v0
	v_cvt_u32_f32_e32 v0, v0
	s_delay_alu instid0(VALU_DEP_1) | instskip(NEXT) | instid1(VALU_DEP_1)
	v_mul_lo_u32 v1, s1, v0
	v_mul_hi_u32 v1, v0, v1
	s_delay_alu instid0(VALU_DEP_1) | instskip(NEXT) | instid1(VALU_DEP_1)
	v_add_nc_u32_e32 v0, v0, v1
	v_mul_hi_u32 v0, v6, v0
	s_delay_alu instid0(VALU_DEP_1) | instskip(SKIP_1) | instid1(VALU_DEP_2)
	v_mul_lo_u32 v1, v0, s8
	v_add_nc_u32_e32 v2, 1, v0
	v_sub_nc_u32_e32 v1, v6, v1
	s_delay_alu instid0(VALU_DEP_1) | instskip(SKIP_1) | instid1(VALU_DEP_2)
	v_subrev_nc_u32_e32 v3, s8, v1
	v_cmp_le_u32_e32 vcc_lo, s8, v1
	v_dual_cndmask_b32 v1, v1, v3 :: v_dual_cndmask_b32 v0, v0, v2
	s_delay_alu instid0(VALU_DEP_1) | instskip(NEXT) | instid1(VALU_DEP_2)
	v_cmp_le_u32_e32 vcc_lo, s8, v1
	v_dual_mov_b32 v1, 0 :: v_dual_add_nc_u32 v2, 1, v0
	s_delay_alu instid0(VALU_DEP_1)
	v_cndmask_b32_e32 v0, v0, v2, vcc_lo
.LBB80_5:
	s_or_b32 exec_lo, exec_lo, s0
	s_delay_alu instid0(VALU_DEP_1) | instskip(NEXT) | instid1(VALU_DEP_2)
	v_mul_lo_u32 v4, v1, s8
	v_mul_lo_u32 v5, v0, s9
	v_mad_u64_u32 v[2:3], null, v0, s8, 0
	s_delay_alu instid0(VALU_DEP_1) | instskip(NEXT) | instid1(VALU_DEP_2)
	v_add3_u32 v3, v3, v5, v4
	v_sub_co_u32 v4, vcc_lo, v6, v2
	v_mov_b32_e32 v2, 0
	s_delay_alu instid0(VALU_DEP_3) | instskip(NEXT) | instid1(VALU_DEP_1)
	v_sub_co_ci_u32_e32 v5, vcc_lo, v7, v3, vcc_lo
	v_or_b32_e32 v3, s11, v5
	s_delay_alu instid0(VALU_DEP_1) | instskip(SKIP_1) | instid1(SALU_CYCLE_1)
	v_cmp_ne_u64_e32 vcc_lo, 0, v[2:3]
                                        ; implicit-def: $vgpr2_vgpr3
	s_and_saveexec_b32 s0, vcc_lo
	s_xor_b32 s1, exec_lo, s0
	s_cbranch_execz .LBB80_7
; %bb.6:
	v_cvt_f32_u32_e32 v2, s10
	v_cvt_f32_u32_e32 v3, s11
	s_sub_u32 s0, 0, s10
	s_subb_u32 s2, 0, s11
	s_delay_alu instid0(VALU_DEP_1) | instskip(NEXT) | instid1(VALU_DEP_1)
	v_fmamk_f32 v2, v3, 0x4f800000, v2
	v_rcp_f32_e32 v2, v2
	s_waitcnt_depctr 0xfff
	v_mul_f32_e32 v2, 0x5f7ffffc, v2
	s_delay_alu instid0(VALU_DEP_1) | instskip(NEXT) | instid1(VALU_DEP_1)
	v_mul_f32_e32 v3, 0x2f800000, v2
	v_trunc_f32_e32 v3, v3
	s_delay_alu instid0(VALU_DEP_1) | instskip(SKIP_1) | instid1(VALU_DEP_2)
	v_fmamk_f32 v2, v3, 0xcf800000, v2
	v_cvt_u32_f32_e32 v3, v3
	v_cvt_u32_f32_e32 v2, v2
	s_delay_alu instid0(VALU_DEP_2) | instskip(NEXT) | instid1(VALU_DEP_2)
	v_mul_lo_u32 v8, s0, v3
	v_mul_hi_u32 v9, s0, v2
	v_mul_lo_u32 v10, s2, v2
	s_delay_alu instid0(VALU_DEP_2) | instskip(SKIP_1) | instid1(VALU_DEP_2)
	v_add_nc_u32_e32 v8, v9, v8
	v_mul_lo_u32 v9, s0, v2
	v_add_nc_u32_e32 v8, v8, v10
	s_delay_alu instid0(VALU_DEP_2) | instskip(NEXT) | instid1(VALU_DEP_2)
	v_mul_hi_u32 v10, v2, v9
	v_mul_lo_u32 v11, v2, v8
	v_mul_hi_u32 v12, v2, v8
	v_mul_hi_u32 v13, v3, v9
	v_mul_lo_u32 v9, v3, v9
	v_mul_hi_u32 v14, v3, v8
	v_mul_lo_u32 v8, v3, v8
	v_add_co_u32 v10, vcc_lo, v10, v11
	v_add_co_ci_u32_e32 v11, vcc_lo, 0, v12, vcc_lo
	s_delay_alu instid0(VALU_DEP_2) | instskip(NEXT) | instid1(VALU_DEP_2)
	v_add_co_u32 v9, vcc_lo, v10, v9
	v_add_co_ci_u32_e32 v9, vcc_lo, v11, v13, vcc_lo
	v_add_co_ci_u32_e32 v10, vcc_lo, 0, v14, vcc_lo
	s_delay_alu instid0(VALU_DEP_2) | instskip(NEXT) | instid1(VALU_DEP_2)
	v_add_co_u32 v8, vcc_lo, v9, v8
	v_add_co_ci_u32_e32 v9, vcc_lo, 0, v10, vcc_lo
	s_delay_alu instid0(VALU_DEP_2) | instskip(NEXT) | instid1(VALU_DEP_2)
	v_add_co_u32 v2, vcc_lo, v2, v8
	v_add_co_ci_u32_e32 v3, vcc_lo, v3, v9, vcc_lo
	s_delay_alu instid0(VALU_DEP_2) | instskip(SKIP_1) | instid1(VALU_DEP_3)
	v_mul_hi_u32 v8, s0, v2
	v_mul_lo_u32 v10, s2, v2
	v_mul_lo_u32 v9, s0, v3
	s_delay_alu instid0(VALU_DEP_1) | instskip(SKIP_1) | instid1(VALU_DEP_2)
	v_add_nc_u32_e32 v8, v8, v9
	v_mul_lo_u32 v9, s0, v2
	v_add_nc_u32_e32 v8, v8, v10
	s_delay_alu instid0(VALU_DEP_2) | instskip(NEXT) | instid1(VALU_DEP_2)
	v_mul_hi_u32 v10, v2, v9
	v_mul_lo_u32 v11, v2, v8
	v_mul_hi_u32 v12, v2, v8
	v_mul_hi_u32 v13, v3, v9
	v_mul_lo_u32 v9, v3, v9
	v_mul_hi_u32 v14, v3, v8
	v_mul_lo_u32 v8, v3, v8
	v_add_co_u32 v10, vcc_lo, v10, v11
	v_add_co_ci_u32_e32 v11, vcc_lo, 0, v12, vcc_lo
	s_delay_alu instid0(VALU_DEP_2) | instskip(NEXT) | instid1(VALU_DEP_2)
	v_add_co_u32 v9, vcc_lo, v10, v9
	v_add_co_ci_u32_e32 v9, vcc_lo, v11, v13, vcc_lo
	v_add_co_ci_u32_e32 v10, vcc_lo, 0, v14, vcc_lo
	s_delay_alu instid0(VALU_DEP_2) | instskip(NEXT) | instid1(VALU_DEP_2)
	v_add_co_u32 v8, vcc_lo, v9, v8
	v_add_co_ci_u32_e32 v9, vcc_lo, 0, v10, vcc_lo
	s_delay_alu instid0(VALU_DEP_2) | instskip(NEXT) | instid1(VALU_DEP_2)
	v_add_co_u32 v10, vcc_lo, v2, v8
	v_add_co_ci_u32_e32 v12, vcc_lo, v3, v9, vcc_lo
	s_delay_alu instid0(VALU_DEP_2) | instskip(SKIP_1) | instid1(VALU_DEP_3)
	v_mul_hi_u32 v13, v4, v10
	v_mad_u64_u32 v[8:9], null, v5, v10, 0
	v_mad_u64_u32 v[2:3], null, v4, v12, 0
	;; [unrolled: 1-line block ×3, first 2 shown]
	s_delay_alu instid0(VALU_DEP_2) | instskip(NEXT) | instid1(VALU_DEP_3)
	v_add_co_u32 v2, vcc_lo, v13, v2
	v_add_co_ci_u32_e32 v3, vcc_lo, 0, v3, vcc_lo
	s_delay_alu instid0(VALU_DEP_2) | instskip(NEXT) | instid1(VALU_DEP_2)
	v_add_co_u32 v2, vcc_lo, v2, v8
	v_add_co_ci_u32_e32 v2, vcc_lo, v3, v9, vcc_lo
	v_add_co_ci_u32_e32 v3, vcc_lo, 0, v11, vcc_lo
	s_delay_alu instid0(VALU_DEP_2) | instskip(NEXT) | instid1(VALU_DEP_2)
	v_add_co_u32 v8, vcc_lo, v2, v10
	v_add_co_ci_u32_e32 v9, vcc_lo, 0, v3, vcc_lo
	s_delay_alu instid0(VALU_DEP_2) | instskip(SKIP_1) | instid1(VALU_DEP_3)
	v_mul_lo_u32 v10, s11, v8
	v_mad_u64_u32 v[2:3], null, s10, v8, 0
	v_mul_lo_u32 v11, s10, v9
	s_delay_alu instid0(VALU_DEP_2) | instskip(NEXT) | instid1(VALU_DEP_2)
	v_sub_co_u32 v2, vcc_lo, v4, v2
	v_add3_u32 v3, v3, v11, v10
	s_delay_alu instid0(VALU_DEP_1) | instskip(NEXT) | instid1(VALU_DEP_1)
	v_sub_nc_u32_e32 v10, v5, v3
	v_subrev_co_ci_u32_e64 v10, s0, s11, v10, vcc_lo
	v_add_co_u32 v11, s0, v8, 2
	s_delay_alu instid0(VALU_DEP_1) | instskip(SKIP_3) | instid1(VALU_DEP_3)
	v_add_co_ci_u32_e64 v12, s0, 0, v9, s0
	v_sub_co_u32 v13, s0, v2, s10
	v_sub_co_ci_u32_e32 v3, vcc_lo, v5, v3, vcc_lo
	v_subrev_co_ci_u32_e64 v10, s0, 0, v10, s0
	v_cmp_le_u32_e32 vcc_lo, s10, v13
	s_delay_alu instid0(VALU_DEP_3) | instskip(SKIP_1) | instid1(VALU_DEP_4)
	v_cmp_eq_u32_e64 s0, s11, v3
	v_cndmask_b32_e64 v13, 0, -1, vcc_lo
	v_cmp_le_u32_e32 vcc_lo, s11, v10
	v_cndmask_b32_e64 v14, 0, -1, vcc_lo
	v_cmp_le_u32_e32 vcc_lo, s10, v2
	;; [unrolled: 2-line block ×3, first 2 shown]
	v_cndmask_b32_e64 v15, 0, -1, vcc_lo
	v_cmp_eq_u32_e32 vcc_lo, s11, v10
	s_delay_alu instid0(VALU_DEP_2) | instskip(SKIP_3) | instid1(VALU_DEP_3)
	v_cndmask_b32_e64 v2, v15, v2, s0
	v_cndmask_b32_e32 v10, v14, v13, vcc_lo
	v_add_co_u32 v13, vcc_lo, v8, 1
	v_add_co_ci_u32_e32 v14, vcc_lo, 0, v9, vcc_lo
	v_cmp_ne_u32_e32 vcc_lo, 0, v10
	s_delay_alu instid0(VALU_DEP_2) | instskip(SKIP_1) | instid1(VALU_DEP_2)
	v_dual_cndmask_b32 v3, v14, v12 :: v_dual_cndmask_b32 v10, v13, v11
	v_cmp_ne_u32_e32 vcc_lo, 0, v2
	v_dual_cndmask_b32 v3, v9, v3 :: v_dual_cndmask_b32 v2, v8, v10
.LBB80_7:
	s_and_not1_saveexec_b32 s0, s1
	s_cbranch_execz .LBB80_9
; %bb.8:
	v_cvt_f32_u32_e32 v2, s10
	s_sub_i32 s1, 0, s10
	s_delay_alu instid0(VALU_DEP_1) | instskip(SKIP_2) | instid1(VALU_DEP_1)
	v_rcp_iflag_f32_e32 v2, v2
	s_waitcnt_depctr 0xfff
	v_mul_f32_e32 v2, 0x4f7ffffe, v2
	v_cvt_u32_f32_e32 v2, v2
	s_delay_alu instid0(VALU_DEP_1) | instskip(NEXT) | instid1(VALU_DEP_1)
	v_mul_lo_u32 v3, s1, v2
	v_mul_hi_u32 v3, v2, v3
	s_delay_alu instid0(VALU_DEP_1) | instskip(NEXT) | instid1(VALU_DEP_1)
	v_add_nc_u32_e32 v2, v2, v3
	v_mul_hi_u32 v2, v4, v2
	s_delay_alu instid0(VALU_DEP_1) | instskip(SKIP_1) | instid1(VALU_DEP_2)
	v_mul_lo_u32 v3, v2, s10
	v_add_nc_u32_e32 v8, 1, v2
	v_sub_nc_u32_e32 v3, v4, v3
	s_delay_alu instid0(VALU_DEP_1) | instskip(SKIP_1) | instid1(VALU_DEP_2)
	v_subrev_nc_u32_e32 v9, s10, v3
	v_cmp_le_u32_e32 vcc_lo, s10, v3
	v_dual_cndmask_b32 v3, v3, v9 :: v_dual_cndmask_b32 v2, v2, v8
	s_delay_alu instid0(VALU_DEP_1) | instskip(NEXT) | instid1(VALU_DEP_2)
	v_cmp_le_u32_e32 vcc_lo, s10, v3
	v_dual_mov_b32 v3, 0 :: v_dual_add_nc_u32 v8, 1, v2
	s_delay_alu instid0(VALU_DEP_1)
	v_cndmask_b32_e32 v2, v2, v8, vcc_lo
.LBB80_9:
	s_or_b32 exec_lo, exec_lo, s0
	s_delay_alu instid0(VALU_DEP_1) | instskip(NEXT) | instid1(VALU_DEP_2)
	v_mul_lo_u32 v12, v3, s10
	v_mul_lo_u32 v13, v2, s11
	v_mad_u64_u32 v[8:9], null, v2, s10, 0
	v_mad_u64_u32 v[10:11], null, v0, s6, v[2:3]
	v_mul_lo_u32 v0, v0, s7
	v_mul_lo_u32 v1, v1, s6
	s_delay_alu instid0(VALU_DEP_4) | instskip(NEXT) | instid1(VALU_DEP_2)
	v_add3_u32 v2, v9, v13, v12
	v_add3_u32 v3, v1, v11, v0
	v_sub_co_u32 v0, vcc_lo, v4, v8
	s_delay_alu instid0(VALU_DEP_3) | instskip(SKIP_1) | instid1(VALU_DEP_4)
	v_sub_co_ci_u32_e32 v1, vcc_lo, v5, v2, vcc_lo
	v_mul_lo_u32 v4, v10, s5
	v_mul_lo_u32 v5, v3, s4
                                        ; implicit-def: $vgpr8
	s_delay_alu instid0(VALU_DEP_3) | instskip(NEXT) | instid1(VALU_DEP_1)
	v_mad_u64_u32 v[2:3], null, v10, s4, v[0:1]
	v_add3_u32 v3, v5, v3, v4
	s_delay_alu instid0(VALU_DEP_2) | instskip(NEXT) | instid1(VALU_DEP_2)
	v_cvt_f64_u32_e32 v[4:5], v2
	v_cvt_f64_u32_e32 v[0:1], v3
	v_cmp_lt_u64_e32 vcc_lo, 0x3fffffff, v[2:3]
                                        ; implicit-def: $vgpr2_vgpr3
	s_delay_alu instid0(VALU_DEP_2) | instskip(NEXT) | instid1(VALU_DEP_1)
	v_ldexp_f64 v[0:1], v[0:1], 32
	v_add_f64 v[0:1], v[0:1], v[4:5]
                                        ; implicit-def: $vgpr4_vgpr5
	s_and_saveexec_b32 s0, vcc_lo
	s_delay_alu instid0(SALU_CYCLE_1)
	s_xor_b32 s1, exec_lo, s0
	s_cbranch_execz .LBB80_11
; %bb.10:
	s_delay_alu instid0(VALU_DEP_1)
	v_trig_preop_f64 v[2:3], v[0:1], 0
	v_trig_preop_f64 v[4:5], v[0:1], 1
	;; [unrolled: 1-line block ×3, first 2 shown]
	v_mov_b32_e32 v24, 0
	s_mov_b32 s2, 0x54442d18
	s_mov_b32 s3, 0x3ff921fb
	;; [unrolled: 1-line block ×4, first 2 shown]
	s_delay_alu instid0(VALU_DEP_4) | instskip(NEXT) | instid1(VALU_DEP_4)
	v_mul_f64 v[8:9], v[2:3], v[0:1]
	v_mul_f64 v[10:11], v[4:5], v[0:1]
	s_delay_alu instid0(VALU_DEP_4) | instskip(NEXT) | instid1(VALU_DEP_3)
	v_mul_f64 v[22:23], v[16:17], v[0:1]
	v_fma_f64 v[2:3], v[2:3], v[0:1], -v[8:9]
	s_delay_alu instid0(VALU_DEP_3) | instskip(NEXT) | instid1(VALU_DEP_3)
	v_fma_f64 v[4:5], v[4:5], v[0:1], -v[10:11]
	v_fma_f64 v[16:17], v[16:17], v[0:1], -v[22:23]
	s_delay_alu instid0(VALU_DEP_3) | instskip(NEXT) | instid1(VALU_DEP_1)
	v_add_f64 v[12:13], v[10:11], v[2:3]
	v_add_f64 v[14:15], v[12:13], -v[10:11]
	v_add_f64 v[20:21], v[8:9], v[12:13]
	s_delay_alu instid0(VALU_DEP_2) | instskip(SKIP_1) | instid1(VALU_DEP_3)
	v_add_f64 v[18:19], v[12:13], -v[14:15]
	v_add_f64 v[2:3], v[2:3], -v[14:15]
	v_ldexp_f64 v[14:15], v[20:21], -2
	v_add_f64 v[8:9], v[20:21], -v[8:9]
	s_delay_alu instid0(VALU_DEP_4) | instskip(SKIP_1) | instid1(VALU_DEP_4)
	v_add_f64 v[10:11], v[10:11], -v[18:19]
	v_add_f64 v[18:19], v[22:23], v[4:5]
	v_cmp_neq_f64_e64 vcc_lo, 0x7ff00000, |v[14:15]|
	s_delay_alu instid0(VALU_DEP_4) | instskip(NEXT) | instid1(VALU_DEP_4)
	v_add_f64 v[8:9], v[12:13], -v[8:9]
	v_add_f64 v[2:3], v[2:3], v[10:11]
	v_fract_f64_e32 v[10:11], v[14:15]
	s_delay_alu instid0(VALU_DEP_2) | instskip(NEXT) | instid1(VALU_DEP_2)
	v_add_f64 v[12:13], v[18:19], v[2:3]
	v_dual_cndmask_b32 v11, 0, v11 :: v_dual_cndmask_b32 v10, 0, v10
	s_delay_alu instid0(VALU_DEP_1) | instskip(NEXT) | instid1(VALU_DEP_3)
	v_ldexp_f64 v[10:11], v[10:11], 2
	v_add_f64 v[14:15], v[8:9], v[12:13]
	s_delay_alu instid0(VALU_DEP_1) | instskip(SKIP_1) | instid1(VALU_DEP_2)
	v_add_f64 v[20:21], v[14:15], v[10:11]
	v_add_f64 v[8:9], v[14:15], -v[8:9]
	v_cmp_gt_f64_e32 vcc_lo, 0, v[20:21]
	v_add_f64 v[20:21], v[18:19], -v[22:23]
	s_delay_alu instid0(VALU_DEP_3) | instskip(SKIP_1) | instid1(VALU_DEP_3)
	v_add_f64 v[8:9], v[12:13], -v[8:9]
	v_cndmask_b32_e64 v25, 0, 0x40100000, vcc_lo
	v_add_f64 v[29:30], v[18:19], -v[20:21]
	v_add_f64 v[4:5], v[4:5], -v[20:21]
	s_delay_alu instid0(VALU_DEP_3) | instskip(SKIP_1) | instid1(VALU_DEP_4)
	v_add_f64 v[10:11], v[10:11], v[24:25]
	v_add_f64 v[25:26], v[12:13], -v[18:19]
	v_add_f64 v[20:21], v[22:23], -v[29:30]
	s_delay_alu instid0(VALU_DEP_3) | instskip(NEXT) | instid1(VALU_DEP_3)
	v_add_f64 v[27:28], v[14:15], v[10:11]
	v_add_f64 v[31:32], v[12:13], -v[25:26]
	v_add_f64 v[2:3], v[2:3], -v[25:26]
	s_delay_alu instid0(VALU_DEP_4) | instskip(NEXT) | instid1(VALU_DEP_4)
	v_add_f64 v[4:5], v[4:5], v[20:21]
	v_cvt_i32_f64_e32 v27, v[27:28]
	s_delay_alu instid0(VALU_DEP_4) | instskip(NEXT) | instid1(VALU_DEP_2)
	v_add_f64 v[18:19], v[18:19], -v[31:32]
	v_cvt_f64_i32_e32 v[25:26], v27
	s_delay_alu instid0(VALU_DEP_2) | instskip(NEXT) | instid1(VALU_DEP_2)
	v_add_f64 v[2:3], v[2:3], v[18:19]
	v_add_f64 v[10:11], v[10:11], -v[25:26]
	s_delay_alu instid0(VALU_DEP_2) | instskip(NEXT) | instid1(VALU_DEP_2)
	v_add_f64 v[2:3], v[4:5], v[2:3]
	v_add_f64 v[4:5], v[14:15], v[10:11]
	s_delay_alu instid0(VALU_DEP_2) | instskip(NEXT) | instid1(VALU_DEP_2)
	v_add_f64 v[2:3], v[16:17], v[2:3]
	v_add_f64 v[10:11], v[4:5], -v[10:11]
	v_cmp_le_f64_e32 vcc_lo, 0.5, v[4:5]
	s_delay_alu instid0(VALU_DEP_3) | instskip(NEXT) | instid1(VALU_DEP_3)
	v_add_f64 v[2:3], v[8:9], v[2:3]
	v_add_f64 v[9:10], v[14:15], -v[10:11]
	v_cndmask_b32_e64 v25, 0, 0x3ff00000, vcc_lo
	v_add_co_ci_u32_e64 v8, s0, 0, v27, vcc_lo
	s_delay_alu instid0(VALU_DEP_2) | instskip(NEXT) | instid1(VALU_DEP_4)
	v_add_f64 v[4:5], v[4:5], -v[24:25]
	v_add_f64 v[2:3], v[2:3], v[9:10]
	s_delay_alu instid0(VALU_DEP_1) | instskip(NEXT) | instid1(VALU_DEP_1)
	v_add_f64 v[9:10], v[4:5], v[2:3]
	v_mul_f64 v[11:12], v[9:10], s[2:3]
	v_add_f64 v[4:5], v[9:10], -v[4:5]
	s_delay_alu instid0(VALU_DEP_2) | instskip(NEXT) | instid1(VALU_DEP_2)
	v_fma_f64 v[13:14], v[9:10], s[2:3], -v[11:12]
	v_add_f64 v[2:3], v[2:3], -v[4:5]
	s_delay_alu instid0(VALU_DEP_2) | instskip(NEXT) | instid1(VALU_DEP_1)
	v_fma_f64 v[4:5], v[9:10], s[4:5], v[13:14]
	v_fma_f64 v[4:5], v[2:3], s[2:3], v[4:5]
	s_delay_alu instid0(VALU_DEP_1) | instskip(NEXT) | instid1(VALU_DEP_1)
	v_add_f64 v[2:3], v[11:12], v[4:5]
	v_add_f64 v[9:10], v[2:3], -v[11:12]
	s_delay_alu instid0(VALU_DEP_1)
	v_add_f64 v[4:5], v[4:5], -v[9:10]
.LBB80_11:
	s_and_not1_saveexec_b32 s0, s1
	s_cbranch_execz .LBB80_13
; %bb.12:
	s_mov_b32 s2, 0x6dc9c883
	s_mov_b32 s3, 0x3fe45f30
	;; [unrolled: 1-line block ×3, first 2 shown]
	s_delay_alu instid0(VALU_DEP_1) | instskip(SKIP_3) | instid1(VALU_DEP_1)
	v_mul_f64 v[2:3], v[0:1], s[2:3]
	s_mov_b32 s2, 0x54442d18
	s_mov_b32 s3, 0xbff921fb
	s_mov_b32 s4, 0x33145c00
	v_rndne_f64_e32 v[8:9], v[2:3]
	s_delay_alu instid0(VALU_DEP_1) | instskip(SKIP_3) | instid1(VALU_DEP_2)
	v_fma_f64 v[2:3], v[8:9], s[2:3], v[0:1]
	v_mul_f64 v[4:5], v[8:9], s[4:5]
	s_mov_b32 s2, 0x252049c0
	s_mov_b32 s3, 0xb97b839a
	v_fma_f64 v[12:13], v[8:9], s[4:5], v[2:3]
	s_delay_alu instid0(VALU_DEP_2) | instskip(SKIP_1) | instid1(VALU_DEP_1)
	v_add_f64 v[10:11], v[2:3], v[4:5]
	s_mov_b32 s5, 0x3c91a626
	v_add_f64 v[2:3], v[2:3], -v[10:11]
	s_delay_alu instid0(VALU_DEP_3) | instskip(NEXT) | instid1(VALU_DEP_2)
	v_add_f64 v[10:11], v[10:11], -v[12:13]
	v_add_f64 v[2:3], v[2:3], v[4:5]
	v_fma_f64 v[4:5], v[8:9], s[4:5], v[4:5]
	s_delay_alu instid0(VALU_DEP_2) | instskip(NEXT) | instid1(VALU_DEP_1)
	v_add_f64 v[2:3], v[10:11], v[2:3]
	v_add_f64 v[2:3], v[2:3], -v[4:5]
	s_delay_alu instid0(VALU_DEP_1) | instskip(SKIP_1) | instid1(VALU_DEP_2)
	v_fma_f64 v[4:5], v[8:9], s[2:3], v[2:3]
	v_cvt_i32_f64_e32 v8, v[8:9]
	v_add_f64 v[2:3], v[12:13], v[4:5]
	s_delay_alu instid0(VALU_DEP_1) | instskip(NEXT) | instid1(VALU_DEP_1)
	v_add_f64 v[10:11], v[2:3], -v[12:13]
	v_add_f64 v[4:5], v[4:5], -v[10:11]
.LBB80_13:
	s_or_b32 exec_lo, exec_lo, s0
	v_mul_f64 v[9:10], v[2:3], v[2:3]
	s_mov_b32 s0, 0xb42fdfa7
	s_mov_b32 s2, 0xf9a43bb8
	;; [unrolled: 1-line block ×6, first 2 shown]
	s_delay_alu instid0(VALU_DEP_2) | instskip(SKIP_1) | instid1(VALU_DEP_1)
	v_mul_f64 v[19:20], v[4:5], 0.5
	v_and_b32_e32 v0, 1, v8
	v_cmp_eq_u32_e32 vcc_lo, 0, v0
	s_delay_alu instid0(VALU_DEP_4)
	v_fma_f64 v[11:12], v[9:10], s[2:3], s[0:1]
	s_mov_b32 s0, 0x9037ab78
	s_mov_b32 s2, 0x46cc5e42
	;; [unrolled: 1-line block ×4, first 2 shown]
	v_mul_f64 v[15:16], v[9:10], 0.5
	v_fma_f64 v[13:14], v[9:10], s[2:3], s[0:1]
	s_mov_b32 s0, 0xa17f65f6
	s_mov_b32 s2, 0x19e83e5c
	;; [unrolled: 1-line block ×4, first 2 shown]
	v_mul_f64 v[21:22], v[2:3], -v[9:10]
	s_delay_alu instid0(VALU_DEP_4) | instskip(NEXT) | instid1(VALU_DEP_4)
	v_fma_f64 v[11:12], v[9:10], v[11:12], s[4:5]
	v_add_f64 v[17:18], -v[15:16], 1.0
	s_delay_alu instid0(VALU_DEP_4) | instskip(SKIP_2) | instid1(VALU_DEP_3)
	v_fma_f64 v[13:14], v[9:10], v[13:14], s[0:1]
	s_mov_b32 s0, 0x19f4ec90
	s_mov_b32 s1, 0x3efa01a0
	v_fma_f64 v[11:12], v[9:10], v[11:12], s[2:3]
	s_mov_b32 s2, 0x11110bb3
	s_mov_b32 s3, 0x3f811111
	s_delay_alu instid0(VALU_DEP_3) | instskip(NEXT) | instid1(VALU_DEP_3)
	v_add_f64 v[23:24], -v[17:18], 1.0
	v_fma_f64 v[13:14], v[9:10], v[13:14], s[0:1]
	s_mov_b32 s0, 0x16c16967
	s_mov_b32 s1, 0xbf56c16c
	s_delay_alu instid0(VALU_DEP_3) | instskip(NEXT) | instid1(VALU_DEP_3)
	v_fma_f64 v[11:12], v[9:10], v[11:12], s[2:3]
	v_add_f64 v[15:16], v[23:24], -v[15:16]
	s_delay_alu instid0(VALU_DEP_3) | instskip(SKIP_2) | instid1(VALU_DEP_3)
	v_fma_f64 v[13:14], v[9:10], v[13:14], s[0:1]
	s_mov_b32 s1, 0x3fa55555
	s_mov_b32 s0, 0x55555555
	v_fma_f64 v[11:12], v[21:22], v[11:12], v[19:20]
	v_mul_f64 v[19:20], v[9:10], v[9:10]
	s_delay_alu instid0(VALU_DEP_4) | instskip(NEXT) | instid1(VALU_DEP_4)
	v_fma_f64 v[15:16], v[2:3], -v[4:5], v[15:16]
	v_fma_f64 v[13:14], v[9:10], v[13:14], s[0:1]
	s_mov_b32 s1, 0xbfc55555
	s_delay_alu instid0(VALU_DEP_4) | instskip(NEXT) | instid1(VALU_DEP_2)
	v_fma_f64 v[4:5], v[9:10], v[11:12], -v[4:5]
	v_fma_f64 v[9:10], v[19:20], v[13:14], v[15:16]
	s_delay_alu instid0(VALU_DEP_2) | instskip(SKIP_2) | instid1(VALU_DEP_2)
	v_fma_f64 v[4:5], v[21:22], s[0:1], v[4:5]
	s_mov_b32 s0, 0
	s_mov_b32 s1, 0x7ff00000
	v_add_f64 v[9:10], v[17:18], v[9:10]
	s_delay_alu instid0(VALU_DEP_2) | instskip(SKIP_2) | instid1(VALU_DEP_2)
	v_add_f64 v[2:3], v[2:3], -v[4:5]
	v_lshlrev_b32_e32 v4, 30, v8
	v_mov_b32_e32 v8, 0
	v_xor_b32_e32 v1, v4, v1
	s_delay_alu instid0(VALU_DEP_1) | instskip(SKIP_1) | instid1(VALU_DEP_1)
	v_dual_cndmask_b32 v0, v9, v2 :: v_dual_and_b32 v1, 0x80000000, v1
	v_cndmask_b32_e32 v2, v10, v3, vcc_lo
	v_xor_b32_e32 v3, v2, v1
	s_delay_alu instid0(VALU_DEP_1) | instskip(SKIP_2) | instid1(VALU_DEP_3)
	v_lshrrev_b32_e32 v2, 24, v3
	v_and_b32_e32 v9, 0x7ff00000, v3
	v_and_b32_e32 v1, 0xfffff, v3
	v_and_b32_e32 v4, 0x80, v2
	s_delay_alu instid0(VALU_DEP_3) | instskip(SKIP_1) | instid1(VALU_DEP_2)
	v_cmp_ne_u64_e32 vcc_lo, s[0:1], v[8:9]
	s_mov_b32 s0, 1
	v_or_b32_e32 v5, 0x7b, v4
	s_and_saveexec_b32 s1, vcc_lo
	s_delay_alu instid0(SALU_CYCLE_1)
	s_xor_b32 s2, exec_lo, s1
	s_cbranch_execz .LBB80_27
; %bb.14:
	v_dual_mov_b32 v2, v0 :: v_dual_and_b32 v9, 0x7fffffff, v3
	v_mov_b32_e32 v8, v0
	s_mov_b32 s1, 0x40ec0000
	s_delay_alu instid0(VALU_DEP_1) | instid1(SALU_CYCLE_1)
	v_cmp_gt_u64_e32 vcc_lo, s[0:1], v[8:9]
	s_and_saveexec_b32 s0, vcc_lo
	s_delay_alu instid0(SALU_CYCLE_1)
	s_xor_b32 s3, exec_lo, s0
	s_cbranch_execz .LBB80_26
; %bb.15:
	v_mov_b32_e32 v5, 0
	s_mov_b32 s4, exec_lo
	v_cmpx_ne_u64_e32 0, v[2:3]
	s_cbranch_execz .LBB80_25
; %bb.16:
	v_bfe_u32 v5, v3, 20, 11
	s_delay_alu instid0(VALU_DEP_1) | instskip(SKIP_1) | instid1(VALU_DEP_2)
	v_sub_nc_u32_e64 v2, 0x3f1, v5 clamp
	v_cmp_eq_u32_e32 vcc_lo, 0, v5
	v_cndmask_b32_e64 v8, v2, 0x3f0, vcc_lo
	v_or_b32_e32 v2, 0x100000, v1
	s_delay_alu instid0(VALU_DEP_2) | instskip(NEXT) | instid1(VALU_DEP_2)
	v_add_nc_u32_e32 v3, 50, v8
	v_cndmask_b32_e32 v1, v2, v1, vcc_lo
	v_add_nc_u32_e32 v11, 49, v8
	s_delay_alu instid0(VALU_DEP_3) | instskip(NEXT) | instid1(VALU_DEP_3)
	v_lshlrev_b64 v[2:3], v3, -1
	v_lshrrev_b64 v[9:10], v8, v[0:1]
	s_delay_alu instid0(VALU_DEP_3) | instskip(NEXT) | instid1(VALU_DEP_3)
	v_lshlrev_b64 v[11:12], v11, 1
	v_not_b32_e32 v13, v3
	s_delay_alu instid0(VALU_DEP_4) | instskip(NEXT) | instid1(VALU_DEP_4)
	v_not_b32_e32 v14, v2
	v_dual_mov_b32 v2, 0 :: v_dual_and_b32 v3, 0x40000, v10
	s_delay_alu instid0(VALU_DEP_2) | instskip(NEXT) | instid1(VALU_DEP_4)
	v_and_b32_e32 v0, v0, v14
	v_and_b32_e32 v1, v1, v13
	s_delay_alu instid0(VALU_DEP_3) | instskip(SKIP_1) | instid1(VALU_DEP_3)
	v_cmp_eq_u64_e64 s0, 0, v[2:3]
	v_lshrrev_b32_e32 v3, 20, v10
	v_cmp_eq_u64_e64 s1, v[0:1], v[11:12]
	v_add_nc_u32_e32 v0, 0xfffffc10, v5
	s_delay_alu instid0(VALU_DEP_1) | instskip(NEXT) | instid1(VALU_DEP_3)
	v_cndmask_b32_e64 v0, v0, 0xfffffc11, vcc_lo
	s_and_b32 s0, s0, s1
	s_delay_alu instid0(SALU_CYCLE_1) | instskip(SKIP_1) | instid1(VALU_DEP_2)
	v_cndmask_b32_e64 v1, 0, 1, s0
	s_mov_b32 s0, exec_lo
	v_add3_u32 v5, v0, v8, v3
	s_delay_alu instid0(VALU_DEP_2) | instskip(SKIP_1) | instid1(VALU_DEP_3)
	v_sub_co_u32 v1, vcc_lo, v9, v1
	v_subrev_co_ci_u32_e32 v11, vcc_lo, 0, v10, vcc_lo
	v_add_nc_u32_e32 v8, -1, v5
	s_delay_alu instid0(VALU_DEP_3) | instskip(NEXT) | instid1(VALU_DEP_3)
	v_add_co_u32 v0, vcc_lo, v1, v9
	v_and_b32_e32 v3, 0x3ffff, v11
	s_delay_alu instid0(VALU_DEP_1) | instskip(NEXT) | instid1(VALU_DEP_4)
	v_add_co_ci_u32_e32 v1, vcc_lo, v3, v10, vcc_lo
                                        ; implicit-def: $vgpr3
	v_cmpx_ne_u32_e32 0, v8
	s_xor_b32 s0, exec_lo, s0
; %bb.17:
	s_delay_alu instid0(VALU_DEP_2) | instskip(SKIP_1) | instid1(VALU_DEP_2)
	v_and_b32_e32 v3, 0x200000, v1
	v_bfe_u32 v9, v1, 21, 1
	v_cmp_eq_u64_e32 vcc_lo, 0, v[2:3]
	s_delay_alu instid0(VALU_DEP_2)
	v_lshrrev_b64 v[0:1], v9, v[0:1]
	v_cndmask_b32_e32 v3, v5, v8, vcc_lo
; %bb.18:
	s_and_not1_saveexec_b32 s0, s0
; %bb.19:
	s_delay_alu instid0(VALU_DEP_2)
	v_bfe_u32 v3, v1, 20, 1
; %bb.20:
	s_or_b32 exec_lo, exec_lo, s0
	v_lshrrev_b32_e32 v0, 18, v1
	s_delay_alu instid0(VALU_DEP_2) | instskip(SKIP_1) | instid1(VALU_DEP_3)
	v_cmp_gt_i32_e32 vcc_lo, 32, v3
	v_cmp_ne_u32_e64 s0, 0, v3
                                        ; implicit-def: $vgpr5
	v_dual_mov_b32 v1, 0 :: v_dual_cndmask_b32 v0, 3, v0
	s_delay_alu instid0(VALU_DEP_1) | instskip(NEXT) | instid1(VALU_DEP_3)
	v_cmp_ne_u64_e32 vcc_lo, 0, v[0:1]
	s_or_b32 s0, s0, vcc_lo
	s_delay_alu instid0(SALU_CYCLE_1) | instskip(NEXT) | instid1(SALU_CYCLE_1)
	s_and_saveexec_b32 s1, s0
	s_xor_b32 s0, exec_lo, s1
; %bb.21:
	v_min_i32_e32 v1, 31, v3
	s_delay_alu instid0(VALU_DEP_1) | instskip(NEXT) | instid1(VALU_DEP_1)
	v_lshl_or_b32 v1, v1, 2, v4
                                        ; implicit-def: $vgpr4
	v_and_or_b32 v5, v0, 3, v1
; %bb.22:
	s_and_not1_saveexec_b32 s0, s0
; %bb.23:
	v_mov_b32_e32 v5, v4
; %bb.24:
	s_or_b32 exec_lo, exec_lo, s0
.LBB80_25:
	s_delay_alu instid0(SALU_CYCLE_1)
	s_or_b32 exec_lo, exec_lo, s4
.LBB80_26:
	s_and_not1_saveexec_b32 s0, s3
	s_delay_alu instid0(SALU_CYCLE_1)
	s_or_b32 exec_lo, exec_lo, s0
                                        ; implicit-def: $vgpr0_vgpr1
                                        ; implicit-def: $vgpr2
.LBB80_27:
	s_and_not1_saveexec_b32 s0, s2
; %bb.28:
	v_cmp_eq_u64_e32 vcc_lo, 0, v[0:1]
	v_cndmask_b32_e32 v5, v2, v5, vcc_lo
; %bb.29:
	s_or_b32 exec_lo, exec_lo, s0
	v_add_co_u32 v0, vcc_lo, s16, v6
	v_add_co_ci_u32_e32 v1, vcc_lo, s17, v7, vcc_lo
	global_store_b8 v[0:1], v5, off
.LBB80_30:
	s_nop 0
	s_sendmsg sendmsg(MSG_DEALLOC_VGPRS)
	s_endpgm
	.section	.rodata,"a",@progbits
	.p2align	6, 0x0
	.amdhsa_kernel _Z11fill_kernelI13hipblaslt_bf8Z21hipblaslt_init_deviceIS0_Ev8ABC_dims24hipblaslt_initializationbPT_mmmmmEUlmE2_EvS5_mmT0_
		.amdhsa_group_segment_fixed_size 0
		.amdhsa_private_segment_fixed_size 0
		.amdhsa_kernarg_size 312
		.amdhsa_user_sgpr_count 15
		.amdhsa_user_sgpr_dispatch_ptr 0
		.amdhsa_user_sgpr_queue_ptr 0
		.amdhsa_user_sgpr_kernarg_segment_ptr 1
		.amdhsa_user_sgpr_dispatch_id 0
		.amdhsa_user_sgpr_private_segment_size 0
		.amdhsa_wavefront_size32 1
		.amdhsa_uses_dynamic_stack 0
		.amdhsa_enable_private_segment 0
		.amdhsa_system_sgpr_workgroup_id_x 1
		.amdhsa_system_sgpr_workgroup_id_y 0
		.amdhsa_system_sgpr_workgroup_id_z 0
		.amdhsa_system_sgpr_workgroup_info 0
		.amdhsa_system_vgpr_workitem_id 0
		.amdhsa_next_free_vgpr 33
		.amdhsa_next_free_sgpr 20
		.amdhsa_reserve_vcc 1
		.amdhsa_float_round_mode_32 0
		.amdhsa_float_round_mode_16_64 0
		.amdhsa_float_denorm_mode_32 3
		.amdhsa_float_denorm_mode_16_64 3
		.amdhsa_dx10_clamp 1
		.amdhsa_ieee_mode 1
		.amdhsa_fp16_overflow 0
		.amdhsa_workgroup_processor_mode 1
		.amdhsa_memory_ordered 1
		.amdhsa_forward_progress 0
		.amdhsa_shared_vgpr_count 0
		.amdhsa_exception_fp_ieee_invalid_op 0
		.amdhsa_exception_fp_denorm_src 0
		.amdhsa_exception_fp_ieee_div_zero 0
		.amdhsa_exception_fp_ieee_overflow 0
		.amdhsa_exception_fp_ieee_underflow 0
		.amdhsa_exception_fp_ieee_inexact 0
		.amdhsa_exception_int_div_zero 0
	.end_amdhsa_kernel
	.section	.text._Z11fill_kernelI13hipblaslt_bf8Z21hipblaslt_init_deviceIS0_Ev8ABC_dims24hipblaslt_initializationbPT_mmmmmEUlmE2_EvS5_mmT0_,"axG",@progbits,_Z11fill_kernelI13hipblaslt_bf8Z21hipblaslt_init_deviceIS0_Ev8ABC_dims24hipblaslt_initializationbPT_mmmmmEUlmE2_EvS5_mmT0_,comdat
.Lfunc_end80:
	.size	_Z11fill_kernelI13hipblaslt_bf8Z21hipblaslt_init_deviceIS0_Ev8ABC_dims24hipblaslt_initializationbPT_mmmmmEUlmE2_EvS5_mmT0_, .Lfunc_end80-_Z11fill_kernelI13hipblaslt_bf8Z21hipblaslt_init_deviceIS0_Ev8ABC_dims24hipblaslt_initializationbPT_mmmmmEUlmE2_EvS5_mmT0_
                                        ; -- End function
	.section	.AMDGPU.csdata,"",@progbits
; Kernel info:
; codeLenInByte = 4156
; NumSgprs: 22
; NumVgprs: 33
; ScratchSize: 0
; MemoryBound: 0
; FloatMode: 240
; IeeeMode: 1
; LDSByteSize: 0 bytes/workgroup (compile time only)
; SGPRBlocks: 2
; VGPRBlocks: 4
; NumSGPRsForWavesPerEU: 22
; NumVGPRsForWavesPerEU: 33
; Occupancy: 16
; WaveLimiterHint : 0
; COMPUTE_PGM_RSRC2:SCRATCH_EN: 0
; COMPUTE_PGM_RSRC2:USER_SGPR: 15
; COMPUTE_PGM_RSRC2:TRAP_HANDLER: 0
; COMPUTE_PGM_RSRC2:TGID_X_EN: 1
; COMPUTE_PGM_RSRC2:TGID_Y_EN: 0
; COMPUTE_PGM_RSRC2:TGID_Z_EN: 0
; COMPUTE_PGM_RSRC2:TIDIG_COMP_CNT: 0
	.section	.text._Z11fill_kernelI13hipblaslt_bf8Z21hipblaslt_init_deviceIS0_Ev8ABC_dims24hipblaslt_initializationbPT_mmmmmEUlmE3_EvS5_mmT0_,"axG",@progbits,_Z11fill_kernelI13hipblaslt_bf8Z21hipblaslt_init_deviceIS0_Ev8ABC_dims24hipblaslt_initializationbPT_mmmmmEUlmE3_EvS5_mmT0_,comdat
	.protected	_Z11fill_kernelI13hipblaslt_bf8Z21hipblaslt_init_deviceIS0_Ev8ABC_dims24hipblaslt_initializationbPT_mmmmmEUlmE3_EvS5_mmT0_ ; -- Begin function _Z11fill_kernelI13hipblaslt_bf8Z21hipblaslt_init_deviceIS0_Ev8ABC_dims24hipblaslt_initializationbPT_mmmmmEUlmE3_EvS5_mmT0_
	.globl	_Z11fill_kernelI13hipblaslt_bf8Z21hipblaslt_init_deviceIS0_Ev8ABC_dims24hipblaslt_initializationbPT_mmmmmEUlmE3_EvS5_mmT0_
	.p2align	8
	.type	_Z11fill_kernelI13hipblaslt_bf8Z21hipblaslt_init_deviceIS0_Ev8ABC_dims24hipblaslt_initializationbPT_mmmmmEUlmE3_EvS5_mmT0_,@function
_Z11fill_kernelI13hipblaslt_bf8Z21hipblaslt_init_deviceIS0_Ev8ABC_dims24hipblaslt_initializationbPT_mmmmmEUlmE3_EvS5_mmT0_: ; @_Z11fill_kernelI13hipblaslt_bf8Z21hipblaslt_init_deviceIS0_Ev8ABC_dims24hipblaslt_initializationbPT_mmmmmEUlmE3_EvS5_mmT0_
; %bb.0:
	s_clause 0x1
	s_load_b32 s2, s[0:1], 0x44
	s_load_b128 s[16:19], s[0:1], 0x0
	s_waitcnt lgkmcnt(0)
	s_and_b32 s2, s2, 0xffff
	s_delay_alu instid0(SALU_CYCLE_1) | instskip(SKIP_2) | instid1(VALU_DEP_1)
	v_mad_u64_u32 v[1:2], null, s15, s2, v[0:1]
	v_mov_b32_e32 v2, 0
	s_mov_b32 s2, exec_lo
	v_cmpx_gt_u64_e64 s[18:19], v[1:2]
	s_cbranch_execz .LBB81_30
; %bb.1:
	s_clause 0x1
	s_load_b64 s[2:3], s[0:1], 0x10
	s_load_b256 s[4:11], s[0:1], 0x18
	v_mov_b32_e32 v0, v2
	s_waitcnt lgkmcnt(0)
	v_add_co_u32 v6, s0, v1, s2
	s_delay_alu instid0(VALU_DEP_1) | instskip(NEXT) | instid1(VALU_DEP_1)
	v_add_co_ci_u32_e64 v7, null, 0, s3, s0
	v_or_b32_e32 v1, s9, v7
	s_delay_alu instid0(VALU_DEP_1) | instskip(SKIP_1) | instid1(SALU_CYCLE_1)
	v_cmp_ne_u64_e32 vcc_lo, 0, v[0:1]
                                        ; implicit-def: $vgpr0_vgpr1
	s_and_saveexec_b32 s0, vcc_lo
	s_xor_b32 s1, exec_lo, s0
	s_cbranch_execz .LBB81_3
; %bb.2:
	v_cvt_f32_u32_e32 v0, s8
	v_cvt_f32_u32_e32 v1, s9
	s_sub_u32 s0, 0, s8
	s_subb_u32 s2, 0, s9
	s_delay_alu instid0(VALU_DEP_1) | instskip(NEXT) | instid1(VALU_DEP_1)
	v_fmamk_f32 v0, v1, 0x4f800000, v0
	v_rcp_f32_e32 v0, v0
	s_waitcnt_depctr 0xfff
	v_mul_f32_e32 v0, 0x5f7ffffc, v0
	s_delay_alu instid0(VALU_DEP_1) | instskip(NEXT) | instid1(VALU_DEP_1)
	v_mul_f32_e32 v1, 0x2f800000, v0
	v_trunc_f32_e32 v1, v1
	s_delay_alu instid0(VALU_DEP_1) | instskip(SKIP_1) | instid1(VALU_DEP_2)
	v_fmamk_f32 v0, v1, 0xcf800000, v0
	v_cvt_u32_f32_e32 v1, v1
	v_cvt_u32_f32_e32 v0, v0
	s_delay_alu instid0(VALU_DEP_2) | instskip(NEXT) | instid1(VALU_DEP_2)
	v_mul_lo_u32 v2, s0, v1
	v_mul_hi_u32 v3, s0, v0
	v_mul_lo_u32 v4, s2, v0
	s_delay_alu instid0(VALU_DEP_2) | instskip(SKIP_1) | instid1(VALU_DEP_2)
	v_add_nc_u32_e32 v2, v3, v2
	v_mul_lo_u32 v3, s0, v0
	v_add_nc_u32_e32 v2, v2, v4
	s_delay_alu instid0(VALU_DEP_2) | instskip(NEXT) | instid1(VALU_DEP_2)
	v_mul_hi_u32 v4, v0, v3
	v_mul_lo_u32 v5, v0, v2
	v_mul_hi_u32 v8, v0, v2
	v_mul_hi_u32 v9, v1, v3
	v_mul_lo_u32 v3, v1, v3
	v_mul_hi_u32 v10, v1, v2
	v_mul_lo_u32 v2, v1, v2
	v_add_co_u32 v4, vcc_lo, v4, v5
	v_add_co_ci_u32_e32 v5, vcc_lo, 0, v8, vcc_lo
	s_delay_alu instid0(VALU_DEP_2) | instskip(NEXT) | instid1(VALU_DEP_2)
	v_add_co_u32 v3, vcc_lo, v4, v3
	v_add_co_ci_u32_e32 v3, vcc_lo, v5, v9, vcc_lo
	v_add_co_ci_u32_e32 v4, vcc_lo, 0, v10, vcc_lo
	s_delay_alu instid0(VALU_DEP_2) | instskip(NEXT) | instid1(VALU_DEP_2)
	v_add_co_u32 v2, vcc_lo, v3, v2
	v_add_co_ci_u32_e32 v3, vcc_lo, 0, v4, vcc_lo
	s_delay_alu instid0(VALU_DEP_2) | instskip(NEXT) | instid1(VALU_DEP_2)
	v_add_co_u32 v0, vcc_lo, v0, v2
	v_add_co_ci_u32_e32 v1, vcc_lo, v1, v3, vcc_lo
	s_delay_alu instid0(VALU_DEP_2) | instskip(SKIP_1) | instid1(VALU_DEP_3)
	v_mul_hi_u32 v2, s0, v0
	v_mul_lo_u32 v4, s2, v0
	v_mul_lo_u32 v3, s0, v1
	s_delay_alu instid0(VALU_DEP_1) | instskip(SKIP_1) | instid1(VALU_DEP_2)
	v_add_nc_u32_e32 v2, v2, v3
	v_mul_lo_u32 v3, s0, v0
	v_add_nc_u32_e32 v2, v2, v4
	s_delay_alu instid0(VALU_DEP_2) | instskip(NEXT) | instid1(VALU_DEP_2)
	v_mul_hi_u32 v4, v0, v3
	v_mul_lo_u32 v5, v0, v2
	v_mul_hi_u32 v8, v0, v2
	v_mul_hi_u32 v9, v1, v3
	v_mul_lo_u32 v3, v1, v3
	v_mul_hi_u32 v10, v1, v2
	v_mul_lo_u32 v2, v1, v2
	v_add_co_u32 v4, vcc_lo, v4, v5
	v_add_co_ci_u32_e32 v5, vcc_lo, 0, v8, vcc_lo
	s_delay_alu instid0(VALU_DEP_2) | instskip(NEXT) | instid1(VALU_DEP_2)
	v_add_co_u32 v3, vcc_lo, v4, v3
	v_add_co_ci_u32_e32 v3, vcc_lo, v5, v9, vcc_lo
	v_add_co_ci_u32_e32 v4, vcc_lo, 0, v10, vcc_lo
	s_delay_alu instid0(VALU_DEP_2) | instskip(NEXT) | instid1(VALU_DEP_2)
	v_add_co_u32 v2, vcc_lo, v3, v2
	v_add_co_ci_u32_e32 v3, vcc_lo, 0, v4, vcc_lo
	s_delay_alu instid0(VALU_DEP_2) | instskip(NEXT) | instid1(VALU_DEP_2)
	v_add_co_u32 v4, vcc_lo, v0, v2
	v_add_co_ci_u32_e32 v8, vcc_lo, v1, v3, vcc_lo
	s_delay_alu instid0(VALU_DEP_2) | instskip(SKIP_1) | instid1(VALU_DEP_3)
	v_mul_hi_u32 v9, v6, v4
	v_mad_u64_u32 v[2:3], null, v7, v4, 0
	v_mad_u64_u32 v[0:1], null, v6, v8, 0
	;; [unrolled: 1-line block ×3, first 2 shown]
	s_delay_alu instid0(VALU_DEP_2) | instskip(NEXT) | instid1(VALU_DEP_3)
	v_add_co_u32 v0, vcc_lo, v9, v0
	v_add_co_ci_u32_e32 v1, vcc_lo, 0, v1, vcc_lo
	s_delay_alu instid0(VALU_DEP_2) | instskip(NEXT) | instid1(VALU_DEP_2)
	v_add_co_u32 v0, vcc_lo, v0, v2
	v_add_co_ci_u32_e32 v0, vcc_lo, v1, v3, vcc_lo
	v_add_co_ci_u32_e32 v1, vcc_lo, 0, v5, vcc_lo
	s_delay_alu instid0(VALU_DEP_2) | instskip(NEXT) | instid1(VALU_DEP_2)
	v_add_co_u32 v2, vcc_lo, v0, v4
	v_add_co_ci_u32_e32 v3, vcc_lo, 0, v1, vcc_lo
	s_delay_alu instid0(VALU_DEP_2) | instskip(SKIP_1) | instid1(VALU_DEP_3)
	v_mul_lo_u32 v4, s9, v2
	v_mad_u64_u32 v[0:1], null, s8, v2, 0
	v_mul_lo_u32 v5, s8, v3
	s_delay_alu instid0(VALU_DEP_2) | instskip(NEXT) | instid1(VALU_DEP_2)
	v_sub_co_u32 v0, vcc_lo, v6, v0
	v_add3_u32 v1, v1, v5, v4
	s_delay_alu instid0(VALU_DEP_1) | instskip(NEXT) | instid1(VALU_DEP_1)
	v_sub_nc_u32_e32 v4, v7, v1
	v_subrev_co_ci_u32_e64 v4, s0, s9, v4, vcc_lo
	v_add_co_u32 v5, s0, v2, 2
	s_delay_alu instid0(VALU_DEP_1) | instskip(SKIP_3) | instid1(VALU_DEP_3)
	v_add_co_ci_u32_e64 v8, s0, 0, v3, s0
	v_sub_co_u32 v9, s0, v0, s8
	v_sub_co_ci_u32_e32 v1, vcc_lo, v7, v1, vcc_lo
	v_subrev_co_ci_u32_e64 v4, s0, 0, v4, s0
	v_cmp_le_u32_e32 vcc_lo, s8, v9
	s_delay_alu instid0(VALU_DEP_3) | instskip(SKIP_1) | instid1(VALU_DEP_4)
	v_cmp_eq_u32_e64 s0, s9, v1
	v_cndmask_b32_e64 v9, 0, -1, vcc_lo
	v_cmp_le_u32_e32 vcc_lo, s9, v4
	v_cndmask_b32_e64 v10, 0, -1, vcc_lo
	v_cmp_le_u32_e32 vcc_lo, s8, v0
	;; [unrolled: 2-line block ×3, first 2 shown]
	v_cndmask_b32_e64 v11, 0, -1, vcc_lo
	v_cmp_eq_u32_e32 vcc_lo, s9, v4
	s_delay_alu instid0(VALU_DEP_2) | instskip(SKIP_3) | instid1(VALU_DEP_3)
	v_cndmask_b32_e64 v0, v11, v0, s0
	v_cndmask_b32_e32 v4, v10, v9, vcc_lo
	v_add_co_u32 v9, vcc_lo, v2, 1
	v_add_co_ci_u32_e32 v10, vcc_lo, 0, v3, vcc_lo
	v_cmp_ne_u32_e32 vcc_lo, 0, v4
	s_delay_alu instid0(VALU_DEP_2) | instskip(SKIP_1) | instid1(VALU_DEP_2)
	v_dual_cndmask_b32 v1, v10, v8 :: v_dual_cndmask_b32 v4, v9, v5
	v_cmp_ne_u32_e32 vcc_lo, 0, v0
	v_dual_cndmask_b32 v1, v3, v1 :: v_dual_cndmask_b32 v0, v2, v4
.LBB81_3:
	s_and_not1_saveexec_b32 s0, s1
	s_cbranch_execz .LBB81_5
; %bb.4:
	v_cvt_f32_u32_e32 v0, s8
	s_sub_i32 s1, 0, s8
	s_delay_alu instid0(VALU_DEP_1) | instskip(SKIP_2) | instid1(VALU_DEP_1)
	v_rcp_iflag_f32_e32 v0, v0
	s_waitcnt_depctr 0xfff
	v_mul_f32_e32 v0, 0x4f7ffffe, v0
	v_cvt_u32_f32_e32 v0, v0
	s_delay_alu instid0(VALU_DEP_1) | instskip(NEXT) | instid1(VALU_DEP_1)
	v_mul_lo_u32 v1, s1, v0
	v_mul_hi_u32 v1, v0, v1
	s_delay_alu instid0(VALU_DEP_1) | instskip(NEXT) | instid1(VALU_DEP_1)
	v_add_nc_u32_e32 v0, v0, v1
	v_mul_hi_u32 v0, v6, v0
	s_delay_alu instid0(VALU_DEP_1) | instskip(SKIP_1) | instid1(VALU_DEP_2)
	v_mul_lo_u32 v1, v0, s8
	v_add_nc_u32_e32 v2, 1, v0
	v_sub_nc_u32_e32 v1, v6, v1
	s_delay_alu instid0(VALU_DEP_1) | instskip(SKIP_1) | instid1(VALU_DEP_2)
	v_subrev_nc_u32_e32 v3, s8, v1
	v_cmp_le_u32_e32 vcc_lo, s8, v1
	v_dual_cndmask_b32 v1, v1, v3 :: v_dual_cndmask_b32 v0, v0, v2
	s_delay_alu instid0(VALU_DEP_1) | instskip(NEXT) | instid1(VALU_DEP_2)
	v_cmp_le_u32_e32 vcc_lo, s8, v1
	v_dual_mov_b32 v1, 0 :: v_dual_add_nc_u32 v2, 1, v0
	s_delay_alu instid0(VALU_DEP_1)
	v_cndmask_b32_e32 v0, v0, v2, vcc_lo
.LBB81_5:
	s_or_b32 exec_lo, exec_lo, s0
	s_delay_alu instid0(VALU_DEP_1) | instskip(NEXT) | instid1(VALU_DEP_2)
	v_mul_lo_u32 v4, v1, s8
	v_mul_lo_u32 v5, v0, s9
	v_mad_u64_u32 v[2:3], null, v0, s8, 0
	s_delay_alu instid0(VALU_DEP_1) | instskip(NEXT) | instid1(VALU_DEP_2)
	v_add3_u32 v3, v3, v5, v4
	v_sub_co_u32 v4, vcc_lo, v6, v2
	v_mov_b32_e32 v2, 0
	s_delay_alu instid0(VALU_DEP_3) | instskip(NEXT) | instid1(VALU_DEP_1)
	v_sub_co_ci_u32_e32 v5, vcc_lo, v7, v3, vcc_lo
	v_or_b32_e32 v3, s11, v5
	s_delay_alu instid0(VALU_DEP_1) | instskip(SKIP_1) | instid1(SALU_CYCLE_1)
	v_cmp_ne_u64_e32 vcc_lo, 0, v[2:3]
                                        ; implicit-def: $vgpr2_vgpr3
	s_and_saveexec_b32 s0, vcc_lo
	s_xor_b32 s1, exec_lo, s0
	s_cbranch_execz .LBB81_7
; %bb.6:
	v_cvt_f32_u32_e32 v2, s10
	v_cvt_f32_u32_e32 v3, s11
	s_sub_u32 s0, 0, s10
	s_subb_u32 s2, 0, s11
	s_delay_alu instid0(VALU_DEP_1) | instskip(NEXT) | instid1(VALU_DEP_1)
	v_fmamk_f32 v2, v3, 0x4f800000, v2
	v_rcp_f32_e32 v2, v2
	s_waitcnt_depctr 0xfff
	v_mul_f32_e32 v2, 0x5f7ffffc, v2
	s_delay_alu instid0(VALU_DEP_1) | instskip(NEXT) | instid1(VALU_DEP_1)
	v_mul_f32_e32 v3, 0x2f800000, v2
	v_trunc_f32_e32 v3, v3
	s_delay_alu instid0(VALU_DEP_1) | instskip(SKIP_1) | instid1(VALU_DEP_2)
	v_fmamk_f32 v2, v3, 0xcf800000, v2
	v_cvt_u32_f32_e32 v3, v3
	v_cvt_u32_f32_e32 v2, v2
	s_delay_alu instid0(VALU_DEP_2) | instskip(NEXT) | instid1(VALU_DEP_2)
	v_mul_lo_u32 v8, s0, v3
	v_mul_hi_u32 v9, s0, v2
	v_mul_lo_u32 v10, s2, v2
	s_delay_alu instid0(VALU_DEP_2) | instskip(SKIP_1) | instid1(VALU_DEP_2)
	v_add_nc_u32_e32 v8, v9, v8
	v_mul_lo_u32 v9, s0, v2
	v_add_nc_u32_e32 v8, v8, v10
	s_delay_alu instid0(VALU_DEP_2) | instskip(NEXT) | instid1(VALU_DEP_2)
	v_mul_hi_u32 v10, v2, v9
	v_mul_lo_u32 v11, v2, v8
	v_mul_hi_u32 v12, v2, v8
	v_mul_hi_u32 v13, v3, v9
	v_mul_lo_u32 v9, v3, v9
	v_mul_hi_u32 v14, v3, v8
	v_mul_lo_u32 v8, v3, v8
	v_add_co_u32 v10, vcc_lo, v10, v11
	v_add_co_ci_u32_e32 v11, vcc_lo, 0, v12, vcc_lo
	s_delay_alu instid0(VALU_DEP_2) | instskip(NEXT) | instid1(VALU_DEP_2)
	v_add_co_u32 v9, vcc_lo, v10, v9
	v_add_co_ci_u32_e32 v9, vcc_lo, v11, v13, vcc_lo
	v_add_co_ci_u32_e32 v10, vcc_lo, 0, v14, vcc_lo
	s_delay_alu instid0(VALU_DEP_2) | instskip(NEXT) | instid1(VALU_DEP_2)
	v_add_co_u32 v8, vcc_lo, v9, v8
	v_add_co_ci_u32_e32 v9, vcc_lo, 0, v10, vcc_lo
	s_delay_alu instid0(VALU_DEP_2) | instskip(NEXT) | instid1(VALU_DEP_2)
	v_add_co_u32 v2, vcc_lo, v2, v8
	v_add_co_ci_u32_e32 v3, vcc_lo, v3, v9, vcc_lo
	s_delay_alu instid0(VALU_DEP_2) | instskip(SKIP_1) | instid1(VALU_DEP_3)
	v_mul_hi_u32 v8, s0, v2
	v_mul_lo_u32 v10, s2, v2
	v_mul_lo_u32 v9, s0, v3
	s_delay_alu instid0(VALU_DEP_1) | instskip(SKIP_1) | instid1(VALU_DEP_2)
	v_add_nc_u32_e32 v8, v8, v9
	v_mul_lo_u32 v9, s0, v2
	v_add_nc_u32_e32 v8, v8, v10
	s_delay_alu instid0(VALU_DEP_2) | instskip(NEXT) | instid1(VALU_DEP_2)
	v_mul_hi_u32 v10, v2, v9
	v_mul_lo_u32 v11, v2, v8
	v_mul_hi_u32 v12, v2, v8
	v_mul_hi_u32 v13, v3, v9
	v_mul_lo_u32 v9, v3, v9
	v_mul_hi_u32 v14, v3, v8
	v_mul_lo_u32 v8, v3, v8
	v_add_co_u32 v10, vcc_lo, v10, v11
	v_add_co_ci_u32_e32 v11, vcc_lo, 0, v12, vcc_lo
	s_delay_alu instid0(VALU_DEP_2) | instskip(NEXT) | instid1(VALU_DEP_2)
	v_add_co_u32 v9, vcc_lo, v10, v9
	v_add_co_ci_u32_e32 v9, vcc_lo, v11, v13, vcc_lo
	v_add_co_ci_u32_e32 v10, vcc_lo, 0, v14, vcc_lo
	s_delay_alu instid0(VALU_DEP_2) | instskip(NEXT) | instid1(VALU_DEP_2)
	v_add_co_u32 v8, vcc_lo, v9, v8
	v_add_co_ci_u32_e32 v9, vcc_lo, 0, v10, vcc_lo
	s_delay_alu instid0(VALU_DEP_2) | instskip(NEXT) | instid1(VALU_DEP_2)
	v_add_co_u32 v10, vcc_lo, v2, v8
	v_add_co_ci_u32_e32 v12, vcc_lo, v3, v9, vcc_lo
	s_delay_alu instid0(VALU_DEP_2) | instskip(SKIP_1) | instid1(VALU_DEP_3)
	v_mul_hi_u32 v13, v4, v10
	v_mad_u64_u32 v[8:9], null, v5, v10, 0
	v_mad_u64_u32 v[2:3], null, v4, v12, 0
	v_mad_u64_u32 v[10:11], null, v5, v12, 0
	s_delay_alu instid0(VALU_DEP_2) | instskip(NEXT) | instid1(VALU_DEP_3)
	v_add_co_u32 v2, vcc_lo, v13, v2
	v_add_co_ci_u32_e32 v3, vcc_lo, 0, v3, vcc_lo
	s_delay_alu instid0(VALU_DEP_2) | instskip(NEXT) | instid1(VALU_DEP_2)
	v_add_co_u32 v2, vcc_lo, v2, v8
	v_add_co_ci_u32_e32 v2, vcc_lo, v3, v9, vcc_lo
	v_add_co_ci_u32_e32 v3, vcc_lo, 0, v11, vcc_lo
	s_delay_alu instid0(VALU_DEP_2) | instskip(NEXT) | instid1(VALU_DEP_2)
	v_add_co_u32 v8, vcc_lo, v2, v10
	v_add_co_ci_u32_e32 v9, vcc_lo, 0, v3, vcc_lo
	s_delay_alu instid0(VALU_DEP_2) | instskip(SKIP_1) | instid1(VALU_DEP_3)
	v_mul_lo_u32 v10, s11, v8
	v_mad_u64_u32 v[2:3], null, s10, v8, 0
	v_mul_lo_u32 v11, s10, v9
	s_delay_alu instid0(VALU_DEP_2) | instskip(NEXT) | instid1(VALU_DEP_2)
	v_sub_co_u32 v2, vcc_lo, v4, v2
	v_add3_u32 v3, v3, v11, v10
	s_delay_alu instid0(VALU_DEP_1) | instskip(NEXT) | instid1(VALU_DEP_1)
	v_sub_nc_u32_e32 v10, v5, v3
	v_subrev_co_ci_u32_e64 v10, s0, s11, v10, vcc_lo
	v_add_co_u32 v11, s0, v8, 2
	s_delay_alu instid0(VALU_DEP_1) | instskip(SKIP_3) | instid1(VALU_DEP_3)
	v_add_co_ci_u32_e64 v12, s0, 0, v9, s0
	v_sub_co_u32 v13, s0, v2, s10
	v_sub_co_ci_u32_e32 v3, vcc_lo, v5, v3, vcc_lo
	v_subrev_co_ci_u32_e64 v10, s0, 0, v10, s0
	v_cmp_le_u32_e32 vcc_lo, s10, v13
	s_delay_alu instid0(VALU_DEP_3) | instskip(SKIP_1) | instid1(VALU_DEP_4)
	v_cmp_eq_u32_e64 s0, s11, v3
	v_cndmask_b32_e64 v13, 0, -1, vcc_lo
	v_cmp_le_u32_e32 vcc_lo, s11, v10
	v_cndmask_b32_e64 v14, 0, -1, vcc_lo
	v_cmp_le_u32_e32 vcc_lo, s10, v2
	;; [unrolled: 2-line block ×3, first 2 shown]
	v_cndmask_b32_e64 v15, 0, -1, vcc_lo
	v_cmp_eq_u32_e32 vcc_lo, s11, v10
	s_delay_alu instid0(VALU_DEP_2) | instskip(SKIP_3) | instid1(VALU_DEP_3)
	v_cndmask_b32_e64 v2, v15, v2, s0
	v_cndmask_b32_e32 v10, v14, v13, vcc_lo
	v_add_co_u32 v13, vcc_lo, v8, 1
	v_add_co_ci_u32_e32 v14, vcc_lo, 0, v9, vcc_lo
	v_cmp_ne_u32_e32 vcc_lo, 0, v10
	s_delay_alu instid0(VALU_DEP_2) | instskip(SKIP_1) | instid1(VALU_DEP_2)
	v_dual_cndmask_b32 v3, v14, v12 :: v_dual_cndmask_b32 v10, v13, v11
	v_cmp_ne_u32_e32 vcc_lo, 0, v2
	v_dual_cndmask_b32 v3, v9, v3 :: v_dual_cndmask_b32 v2, v8, v10
.LBB81_7:
	s_and_not1_saveexec_b32 s0, s1
	s_cbranch_execz .LBB81_9
; %bb.8:
	v_cvt_f32_u32_e32 v2, s10
	s_sub_i32 s1, 0, s10
	s_delay_alu instid0(VALU_DEP_1) | instskip(SKIP_2) | instid1(VALU_DEP_1)
	v_rcp_iflag_f32_e32 v2, v2
	s_waitcnt_depctr 0xfff
	v_mul_f32_e32 v2, 0x4f7ffffe, v2
	v_cvt_u32_f32_e32 v2, v2
	s_delay_alu instid0(VALU_DEP_1) | instskip(NEXT) | instid1(VALU_DEP_1)
	v_mul_lo_u32 v3, s1, v2
	v_mul_hi_u32 v3, v2, v3
	s_delay_alu instid0(VALU_DEP_1) | instskip(NEXT) | instid1(VALU_DEP_1)
	v_add_nc_u32_e32 v2, v2, v3
	v_mul_hi_u32 v2, v4, v2
	s_delay_alu instid0(VALU_DEP_1) | instskip(SKIP_1) | instid1(VALU_DEP_2)
	v_mul_lo_u32 v3, v2, s10
	v_add_nc_u32_e32 v8, 1, v2
	v_sub_nc_u32_e32 v3, v4, v3
	s_delay_alu instid0(VALU_DEP_1) | instskip(SKIP_1) | instid1(VALU_DEP_2)
	v_subrev_nc_u32_e32 v9, s10, v3
	v_cmp_le_u32_e32 vcc_lo, s10, v3
	v_dual_cndmask_b32 v3, v3, v9 :: v_dual_cndmask_b32 v2, v2, v8
	s_delay_alu instid0(VALU_DEP_1) | instskip(NEXT) | instid1(VALU_DEP_2)
	v_cmp_le_u32_e32 vcc_lo, s10, v3
	v_dual_mov_b32 v3, 0 :: v_dual_add_nc_u32 v8, 1, v2
	s_delay_alu instid0(VALU_DEP_1)
	v_cndmask_b32_e32 v2, v2, v8, vcc_lo
.LBB81_9:
	s_or_b32 exec_lo, exec_lo, s0
	s_delay_alu instid0(VALU_DEP_1) | instskip(NEXT) | instid1(VALU_DEP_2)
	v_mul_lo_u32 v12, v3, s10
	v_mul_lo_u32 v13, v2, s11
	v_mad_u64_u32 v[8:9], null, v2, s10, 0
	v_mad_u64_u32 v[10:11], null, v0, s6, v[2:3]
	v_mul_lo_u32 v0, v0, s7
	v_mul_lo_u32 v1, v1, s6
	s_delay_alu instid0(VALU_DEP_4) | instskip(NEXT) | instid1(VALU_DEP_2)
	v_add3_u32 v2, v9, v13, v12
	v_add3_u32 v3, v1, v11, v0
	v_sub_co_u32 v0, vcc_lo, v4, v8
	s_delay_alu instid0(VALU_DEP_3) | instskip(SKIP_1) | instid1(VALU_DEP_4)
	v_sub_co_ci_u32_e32 v1, vcc_lo, v5, v2, vcc_lo
	v_mul_lo_u32 v4, v10, s5
	v_mul_lo_u32 v5, v3, s4
                                        ; implicit-def: $vgpr8
	s_delay_alu instid0(VALU_DEP_3) | instskip(NEXT) | instid1(VALU_DEP_1)
	v_mad_u64_u32 v[2:3], null, v10, s4, v[0:1]
	v_add3_u32 v3, v5, v3, v4
	s_delay_alu instid0(VALU_DEP_2) | instskip(NEXT) | instid1(VALU_DEP_2)
	v_cvt_f64_u32_e32 v[4:5], v2
	v_cvt_f64_u32_e32 v[0:1], v3
	v_cmp_lt_u64_e32 vcc_lo, 0x3fffffff, v[2:3]
                                        ; implicit-def: $vgpr2_vgpr3
	s_delay_alu instid0(VALU_DEP_2) | instskip(NEXT) | instid1(VALU_DEP_1)
	v_ldexp_f64 v[0:1], v[0:1], 32
	v_add_f64 v[4:5], v[0:1], v[4:5]
                                        ; implicit-def: $vgpr0_vgpr1
	s_and_saveexec_b32 s0, vcc_lo
	s_delay_alu instid0(SALU_CYCLE_1)
	s_xor_b32 s1, exec_lo, s0
	s_cbranch_execz .LBB81_11
; %bb.10:
	s_delay_alu instid0(VALU_DEP_1)
	v_trig_preop_f64 v[0:1], v[4:5], 0
	v_trig_preop_f64 v[2:3], v[4:5], 1
	;; [unrolled: 1-line block ×3, first 2 shown]
	v_mov_b32_e32 v24, 0
	s_mov_b32 s2, 0x54442d18
	s_mov_b32 s3, 0x3ff921fb
	s_mov_b32 s4, 0x33145c07
	s_mov_b32 s5, 0x3c91a626
	s_delay_alu instid0(VALU_DEP_4) | instskip(NEXT) | instid1(VALU_DEP_4)
	v_mul_f64 v[8:9], v[0:1], v[4:5]
	v_mul_f64 v[10:11], v[2:3], v[4:5]
	s_delay_alu instid0(VALU_DEP_4) | instskip(NEXT) | instid1(VALU_DEP_3)
	v_mul_f64 v[22:23], v[16:17], v[4:5]
	v_fma_f64 v[0:1], v[0:1], v[4:5], -v[8:9]
	s_delay_alu instid0(VALU_DEP_3) | instskip(NEXT) | instid1(VALU_DEP_3)
	v_fma_f64 v[2:3], v[2:3], v[4:5], -v[10:11]
	v_fma_f64 v[4:5], v[16:17], v[4:5], -v[22:23]
	s_delay_alu instid0(VALU_DEP_3) | instskip(NEXT) | instid1(VALU_DEP_1)
	v_add_f64 v[12:13], v[10:11], v[0:1]
	v_add_f64 v[14:15], v[12:13], -v[10:11]
	v_add_f64 v[20:21], v[8:9], v[12:13]
	s_delay_alu instid0(VALU_DEP_2) | instskip(SKIP_1) | instid1(VALU_DEP_3)
	v_add_f64 v[18:19], v[12:13], -v[14:15]
	v_add_f64 v[0:1], v[0:1], -v[14:15]
	v_ldexp_f64 v[14:15], v[20:21], -2
	v_add_f64 v[8:9], v[20:21], -v[8:9]
	s_delay_alu instid0(VALU_DEP_4) | instskip(SKIP_1) | instid1(VALU_DEP_4)
	v_add_f64 v[10:11], v[10:11], -v[18:19]
	v_add_f64 v[18:19], v[22:23], v[2:3]
	v_cmp_neq_f64_e64 vcc_lo, 0x7ff00000, |v[14:15]|
	s_delay_alu instid0(VALU_DEP_4) | instskip(NEXT) | instid1(VALU_DEP_4)
	v_add_f64 v[8:9], v[12:13], -v[8:9]
	v_add_f64 v[0:1], v[0:1], v[10:11]
	v_fract_f64_e32 v[10:11], v[14:15]
	s_delay_alu instid0(VALU_DEP_2) | instskip(NEXT) | instid1(VALU_DEP_2)
	v_add_f64 v[12:13], v[18:19], v[0:1]
	v_dual_cndmask_b32 v11, 0, v11 :: v_dual_cndmask_b32 v10, 0, v10
	s_delay_alu instid0(VALU_DEP_1) | instskip(NEXT) | instid1(VALU_DEP_3)
	v_ldexp_f64 v[10:11], v[10:11], 2
	v_add_f64 v[14:15], v[8:9], v[12:13]
	s_delay_alu instid0(VALU_DEP_1) | instskip(SKIP_1) | instid1(VALU_DEP_2)
	v_add_f64 v[20:21], v[14:15], v[10:11]
	v_add_f64 v[8:9], v[14:15], -v[8:9]
	v_cmp_gt_f64_e32 vcc_lo, 0, v[20:21]
	v_add_f64 v[20:21], v[18:19], -v[22:23]
	s_delay_alu instid0(VALU_DEP_3) | instskip(SKIP_1) | instid1(VALU_DEP_3)
	v_add_f64 v[8:9], v[12:13], -v[8:9]
	v_cndmask_b32_e64 v25, 0, 0x40100000, vcc_lo
	v_add_f64 v[29:30], v[18:19], -v[20:21]
	v_add_f64 v[2:3], v[2:3], -v[20:21]
	s_delay_alu instid0(VALU_DEP_3) | instskip(SKIP_1) | instid1(VALU_DEP_4)
	v_add_f64 v[10:11], v[10:11], v[24:25]
	v_add_f64 v[25:26], v[12:13], -v[18:19]
	v_add_f64 v[20:21], v[22:23], -v[29:30]
	s_delay_alu instid0(VALU_DEP_3) | instskip(NEXT) | instid1(VALU_DEP_3)
	v_add_f64 v[27:28], v[14:15], v[10:11]
	v_add_f64 v[31:32], v[12:13], -v[25:26]
	v_add_f64 v[0:1], v[0:1], -v[25:26]
	s_delay_alu instid0(VALU_DEP_4) | instskip(NEXT) | instid1(VALU_DEP_4)
	v_add_f64 v[2:3], v[2:3], v[20:21]
	v_cvt_i32_f64_e32 v27, v[27:28]
	s_delay_alu instid0(VALU_DEP_4) | instskip(NEXT) | instid1(VALU_DEP_2)
	v_add_f64 v[18:19], v[18:19], -v[31:32]
	v_cvt_f64_i32_e32 v[25:26], v27
	s_delay_alu instid0(VALU_DEP_2) | instskip(NEXT) | instid1(VALU_DEP_2)
	v_add_f64 v[0:1], v[0:1], v[18:19]
	v_add_f64 v[10:11], v[10:11], -v[25:26]
	s_delay_alu instid0(VALU_DEP_2) | instskip(NEXT) | instid1(VALU_DEP_2)
	v_add_f64 v[0:1], v[2:3], v[0:1]
	v_add_f64 v[2:3], v[14:15], v[10:11]
	s_delay_alu instid0(VALU_DEP_2) | instskip(NEXT) | instid1(VALU_DEP_2)
	v_add_f64 v[0:1], v[4:5], v[0:1]
	v_add_f64 v[4:5], v[2:3], -v[10:11]
	v_cmp_le_f64_e32 vcc_lo, 0.5, v[2:3]
	s_delay_alu instid0(VALU_DEP_3) | instskip(NEXT) | instid1(VALU_DEP_3)
	v_add_f64 v[0:1], v[8:9], v[0:1]
	v_add_f64 v[4:5], v[14:15], -v[4:5]
	v_cndmask_b32_e64 v25, 0, 0x3ff00000, vcc_lo
	v_add_co_ci_u32_e64 v8, s0, 0, v27, vcc_lo
	s_delay_alu instid0(VALU_DEP_2) | instskip(NEXT) | instid1(VALU_DEP_4)
	v_add_f64 v[2:3], v[2:3], -v[24:25]
	v_add_f64 v[0:1], v[0:1], v[4:5]
	s_delay_alu instid0(VALU_DEP_1) | instskip(NEXT) | instid1(VALU_DEP_1)
	v_add_f64 v[4:5], v[2:3], v[0:1]
	v_mul_f64 v[9:10], v[4:5], s[2:3]
	v_add_f64 v[2:3], v[4:5], -v[2:3]
	s_delay_alu instid0(VALU_DEP_2) | instskip(NEXT) | instid1(VALU_DEP_2)
	v_fma_f64 v[11:12], v[4:5], s[2:3], -v[9:10]
	v_add_f64 v[0:1], v[0:1], -v[2:3]
	s_delay_alu instid0(VALU_DEP_2) | instskip(NEXT) | instid1(VALU_DEP_1)
	v_fma_f64 v[2:3], v[4:5], s[4:5], v[11:12]
	v_fma_f64 v[2:3], v[0:1], s[2:3], v[2:3]
	s_delay_alu instid0(VALU_DEP_1) | instskip(NEXT) | instid1(VALU_DEP_1)
	v_add_f64 v[0:1], v[9:10], v[2:3]
	v_add_f64 v[4:5], v[0:1], -v[9:10]
	s_delay_alu instid0(VALU_DEP_1)
	v_add_f64 v[2:3], v[2:3], -v[4:5]
                                        ; implicit-def: $vgpr4_vgpr5
.LBB81_11:
	s_and_not1_saveexec_b32 s0, s1
	s_cbranch_execz .LBB81_13
; %bb.12:
	s_mov_b32 s2, 0x6dc9c883
	s_mov_b32 s3, 0x3fe45f30
	;; [unrolled: 1-line block ×3, first 2 shown]
	s_delay_alu instid0(VALU_DEP_1) | instskip(SKIP_3) | instid1(VALU_DEP_1)
	v_mul_f64 v[0:1], v[4:5], s[2:3]
	s_mov_b32 s2, 0x54442d18
	s_mov_b32 s3, 0xbff921fb
	;; [unrolled: 1-line block ×3, first 2 shown]
	v_rndne_f64_e32 v[8:9], v[0:1]
	s_delay_alu instid0(VALU_DEP_1) | instskip(SKIP_3) | instid1(VALU_DEP_2)
	v_fma_f64 v[0:1], v[8:9], s[2:3], v[4:5]
	v_mul_f64 v[2:3], v[8:9], s[4:5]
	s_mov_b32 s2, 0x252049c0
	s_mov_b32 s3, 0xb97b839a
	v_fma_f64 v[10:11], v[8:9], s[4:5], v[0:1]
	s_delay_alu instid0(VALU_DEP_2) | instskip(SKIP_1) | instid1(VALU_DEP_1)
	v_add_f64 v[4:5], v[0:1], v[2:3]
	s_mov_b32 s5, 0x3c91a626
	v_add_f64 v[0:1], v[0:1], -v[4:5]
	s_delay_alu instid0(VALU_DEP_3) | instskip(NEXT) | instid1(VALU_DEP_2)
	v_add_f64 v[4:5], v[4:5], -v[10:11]
	v_add_f64 v[0:1], v[0:1], v[2:3]
	v_fma_f64 v[2:3], v[8:9], s[4:5], v[2:3]
	s_delay_alu instid0(VALU_DEP_2) | instskip(NEXT) | instid1(VALU_DEP_1)
	v_add_f64 v[0:1], v[4:5], v[0:1]
	v_add_f64 v[0:1], v[0:1], -v[2:3]
	s_delay_alu instid0(VALU_DEP_1) | instskip(SKIP_1) | instid1(VALU_DEP_2)
	v_fma_f64 v[2:3], v[8:9], s[2:3], v[0:1]
	v_cvt_i32_f64_e32 v8, v[8:9]
	v_add_f64 v[0:1], v[10:11], v[2:3]
	s_delay_alu instid0(VALU_DEP_1) | instskip(NEXT) | instid1(VALU_DEP_1)
	v_add_f64 v[4:5], v[0:1], -v[10:11]
	v_add_f64 v[2:3], v[2:3], -v[4:5]
.LBB81_13:
	s_or_b32 exec_lo, exec_lo, s0
	v_mul_f64 v[4:5], v[0:1], v[0:1]
	s_mov_b32 s0, 0xb42fdfa7
	s_mov_b32 s2, 0xf9a43bb8
	;; [unrolled: 1-line block ×4, first 2 shown]
	s_delay_alu instid0(VALU_DEP_2) | instskip(NEXT) | instid1(VALU_DEP_2)
	v_mul_f64 v[17:18], v[2:3], 0.5
	v_fma_f64 v[9:10], v[4:5], s[2:3], s[0:1]
	s_mov_b32 s0, 0x796cde01
	s_mov_b32 s1, 0x3ec71de3
	;; [unrolled: 1-line block ×4, first 2 shown]
	v_mul_f64 v[13:14], v[4:5], 0.5
	v_mul_f64 v[19:20], v[0:1], -v[4:5]
	s_delay_alu instid0(VALU_DEP_3) | instskip(SKIP_2) | instid1(SALU_CYCLE_1)
	v_fma_f64 v[9:10], v[4:5], v[9:10], s[0:1]
	s_mov_b32 s0, 0x46cc5e42
	s_mov_b32 s1, 0xbda907db
	v_fma_f64 v[11:12], v[4:5], s[0:1], s[2:3]
	s_mov_b32 s0, 0x19e83e5c
	s_mov_b32 s1, 0xbf2a01a0
	s_delay_alu instid0(VALU_DEP_4) | instskip(NEXT) | instid1(VALU_DEP_3)
	v_add_f64 v[15:16], -v[13:14], 1.0
	v_fma_f64 v[9:10], v[4:5], v[9:10], s[0:1]
	s_mov_b32 s0, 0xa17f65f6
	s_mov_b32 s1, 0xbe927e4f
	s_delay_alu instid0(VALU_DEP_3) | instid1(SALU_CYCLE_1)
	v_fma_f64 v[11:12], v[4:5], v[11:12], s[0:1]
	s_mov_b32 s0, 0x11110bb3
	s_mov_b32 s1, 0x3f811111
	s_delay_alu instid0(VALU_DEP_3) | instskip(NEXT) | instid1(VALU_DEP_3)
	v_add_f64 v[21:22], -v[15:16], 1.0
	v_fma_f64 v[9:10], v[4:5], v[9:10], s[0:1]
	s_mov_b32 s0, 0x19f4ec90
	s_mov_b32 s1, 0x3efa01a0
	s_delay_alu instid0(VALU_DEP_3) | instid1(SALU_CYCLE_1)
	v_fma_f64 v[11:12], v[4:5], v[11:12], s[0:1]
	s_mov_b32 s0, 0x16c16967
	s_mov_b32 s1, 0xbf56c16c
	s_delay_alu instid0(VALU_DEP_3) | instskip(NEXT) | instid1(VALU_DEP_3)
	v_add_f64 v[13:14], v[21:22], -v[13:14]
	v_fma_f64 v[9:10], v[19:20], v[9:10], v[17:18]
	v_mul_f64 v[17:18], v[4:5], v[4:5]
	s_delay_alu instid0(VALU_DEP_4) | instskip(SKIP_2) | instid1(VALU_DEP_3)
	v_fma_f64 v[11:12], v[4:5], v[11:12], s[0:1]
	s_mov_b32 s1, 0x3fa55555
	s_mov_b32 s0, 0x55555555
	v_fma_f64 v[9:10], v[4:5], v[9:10], -v[2:3]
	v_fma_f64 v[2:3], v[0:1], -v[2:3], v[13:14]
	s_delay_alu instid0(VALU_DEP_3)
	v_fma_f64 v[4:5], v[4:5], v[11:12], s[0:1]
	s_mov_b32 s1, 0xbfc55555
	s_delay_alu instid0(VALU_DEP_3) | instid1(SALU_CYCLE_1)
	v_fma_f64 v[9:10], v[19:20], s[0:1], v[9:10]
	s_mov_b32 s0, 0
	s_mov_b32 s1, 0x7ff00000
	s_delay_alu instid0(VALU_DEP_2) | instskip(NEXT) | instid1(VALU_DEP_2)
	v_fma_f64 v[2:3], v[17:18], v[4:5], v[2:3]
	v_add_f64 v[0:1], v[0:1], -v[9:10]
	s_delay_alu instid0(VALU_DEP_2) | instskip(NEXT) | instid1(VALU_DEP_2)
	v_add_f64 v[2:3], v[15:16], v[2:3]
	v_xor_b32_e32 v1, 0x80000000, v1
	v_and_b32_e32 v4, 1, v8
	s_delay_alu instid0(VALU_DEP_1) | instskip(NEXT) | instid1(VALU_DEP_3)
	v_cmp_eq_u32_e32 vcc_lo, 0, v4
	v_dual_cndmask_b32 v1, v1, v3 :: v_dual_lshlrev_b32 v4, 30, v8
	v_cndmask_b32_e32 v0, v0, v2, vcc_lo
	s_delay_alu instid0(VALU_DEP_2) | instskip(NEXT) | instid1(VALU_DEP_1)
	v_and_b32_e32 v2, 0x80000000, v4
	v_xor_b32_e32 v3, v1, v2
	s_delay_alu instid0(VALU_DEP_1) | instskip(SKIP_2) | instid1(VALU_DEP_2)
	v_dual_mov_b32 v8, 0 :: v_dual_and_b32 v1, 0xfffff, v3
	v_lshrrev_b32_e32 v2, 24, v3
	v_and_b32_e32 v9, 0x7ff00000, v3
	v_and_b32_e32 v4, 0x80, v2
	s_delay_alu instid0(VALU_DEP_2) | instskip(SKIP_1) | instid1(VALU_DEP_2)
	v_cmp_ne_u64_e32 vcc_lo, s[0:1], v[8:9]
	s_mov_b32 s0, 1
	v_or_b32_e32 v5, 0x7b, v4
	s_and_saveexec_b32 s1, vcc_lo
	s_delay_alu instid0(SALU_CYCLE_1)
	s_xor_b32 s2, exec_lo, s1
	s_cbranch_execz .LBB81_27
; %bb.14:
	v_dual_mov_b32 v2, v0 :: v_dual_and_b32 v9, 0x7fffffff, v3
	v_mov_b32_e32 v8, v0
	s_mov_b32 s1, 0x40ec0000
	s_delay_alu instid0(VALU_DEP_1) | instid1(SALU_CYCLE_1)
	v_cmp_gt_u64_e32 vcc_lo, s[0:1], v[8:9]
	s_and_saveexec_b32 s0, vcc_lo
	s_delay_alu instid0(SALU_CYCLE_1)
	s_xor_b32 s3, exec_lo, s0
	s_cbranch_execz .LBB81_26
; %bb.15:
	v_mov_b32_e32 v5, 0
	s_mov_b32 s4, exec_lo
	v_cmpx_ne_u64_e32 0, v[2:3]
	s_cbranch_execz .LBB81_25
; %bb.16:
	v_bfe_u32 v5, v3, 20, 11
	s_delay_alu instid0(VALU_DEP_1) | instskip(SKIP_1) | instid1(VALU_DEP_2)
	v_sub_nc_u32_e64 v2, 0x3f1, v5 clamp
	v_cmp_eq_u32_e32 vcc_lo, 0, v5
	v_cndmask_b32_e64 v8, v2, 0x3f0, vcc_lo
	v_or_b32_e32 v2, 0x100000, v1
	s_delay_alu instid0(VALU_DEP_2) | instskip(NEXT) | instid1(VALU_DEP_2)
	v_add_nc_u32_e32 v3, 50, v8
	v_cndmask_b32_e32 v1, v2, v1, vcc_lo
	v_add_nc_u32_e32 v11, 49, v8
	s_delay_alu instid0(VALU_DEP_3) | instskip(NEXT) | instid1(VALU_DEP_3)
	v_lshlrev_b64 v[2:3], v3, -1
	v_lshrrev_b64 v[9:10], v8, v[0:1]
	s_delay_alu instid0(VALU_DEP_3) | instskip(NEXT) | instid1(VALU_DEP_3)
	v_lshlrev_b64 v[11:12], v11, 1
	v_not_b32_e32 v13, v3
	s_delay_alu instid0(VALU_DEP_4) | instskip(NEXT) | instid1(VALU_DEP_4)
	v_not_b32_e32 v14, v2
	v_dual_mov_b32 v2, 0 :: v_dual_and_b32 v3, 0x40000, v10
	s_delay_alu instid0(VALU_DEP_2) | instskip(NEXT) | instid1(VALU_DEP_4)
	v_and_b32_e32 v0, v0, v14
	v_and_b32_e32 v1, v1, v13
	s_delay_alu instid0(VALU_DEP_3) | instskip(SKIP_1) | instid1(VALU_DEP_3)
	v_cmp_eq_u64_e64 s0, 0, v[2:3]
	v_lshrrev_b32_e32 v3, 20, v10
	v_cmp_eq_u64_e64 s1, v[0:1], v[11:12]
	v_add_nc_u32_e32 v0, 0xfffffc10, v5
	s_delay_alu instid0(VALU_DEP_1) | instskip(NEXT) | instid1(VALU_DEP_3)
	v_cndmask_b32_e64 v0, v0, 0xfffffc11, vcc_lo
	s_and_b32 s0, s0, s1
	s_delay_alu instid0(SALU_CYCLE_1) | instskip(SKIP_1) | instid1(VALU_DEP_2)
	v_cndmask_b32_e64 v1, 0, 1, s0
	s_mov_b32 s0, exec_lo
	v_add3_u32 v5, v0, v8, v3
	s_delay_alu instid0(VALU_DEP_2) | instskip(SKIP_1) | instid1(VALU_DEP_3)
	v_sub_co_u32 v1, vcc_lo, v9, v1
	v_subrev_co_ci_u32_e32 v11, vcc_lo, 0, v10, vcc_lo
	v_add_nc_u32_e32 v8, -1, v5
	s_delay_alu instid0(VALU_DEP_3) | instskip(NEXT) | instid1(VALU_DEP_3)
	v_add_co_u32 v0, vcc_lo, v1, v9
	v_and_b32_e32 v3, 0x3ffff, v11
	s_delay_alu instid0(VALU_DEP_1) | instskip(NEXT) | instid1(VALU_DEP_4)
	v_add_co_ci_u32_e32 v1, vcc_lo, v3, v10, vcc_lo
                                        ; implicit-def: $vgpr3
	v_cmpx_ne_u32_e32 0, v8
	s_xor_b32 s0, exec_lo, s0
; %bb.17:
	s_delay_alu instid0(VALU_DEP_2) | instskip(SKIP_1) | instid1(VALU_DEP_2)
	v_and_b32_e32 v3, 0x200000, v1
	v_bfe_u32 v9, v1, 21, 1
	v_cmp_eq_u64_e32 vcc_lo, 0, v[2:3]
	s_delay_alu instid0(VALU_DEP_2)
	v_lshrrev_b64 v[0:1], v9, v[0:1]
	v_cndmask_b32_e32 v3, v5, v8, vcc_lo
; %bb.18:
	s_and_not1_saveexec_b32 s0, s0
; %bb.19:
	s_delay_alu instid0(VALU_DEP_2)
	v_bfe_u32 v3, v1, 20, 1
; %bb.20:
	s_or_b32 exec_lo, exec_lo, s0
	v_lshrrev_b32_e32 v0, 18, v1
	s_delay_alu instid0(VALU_DEP_2) | instskip(SKIP_1) | instid1(VALU_DEP_3)
	v_cmp_gt_i32_e32 vcc_lo, 32, v3
	v_cmp_ne_u32_e64 s0, 0, v3
                                        ; implicit-def: $vgpr5
	v_dual_mov_b32 v1, 0 :: v_dual_cndmask_b32 v0, 3, v0
	s_delay_alu instid0(VALU_DEP_1) | instskip(NEXT) | instid1(VALU_DEP_3)
	v_cmp_ne_u64_e32 vcc_lo, 0, v[0:1]
	s_or_b32 s0, s0, vcc_lo
	s_delay_alu instid0(SALU_CYCLE_1) | instskip(NEXT) | instid1(SALU_CYCLE_1)
	s_and_saveexec_b32 s1, s0
	s_xor_b32 s0, exec_lo, s1
; %bb.21:
	v_min_i32_e32 v1, 31, v3
	s_delay_alu instid0(VALU_DEP_1) | instskip(NEXT) | instid1(VALU_DEP_1)
	v_lshl_or_b32 v1, v1, 2, v4
                                        ; implicit-def: $vgpr4
	v_and_or_b32 v5, v0, 3, v1
; %bb.22:
	s_and_not1_saveexec_b32 s0, s0
; %bb.23:
	v_mov_b32_e32 v5, v4
; %bb.24:
	s_or_b32 exec_lo, exec_lo, s0
.LBB81_25:
	s_delay_alu instid0(SALU_CYCLE_1)
	s_or_b32 exec_lo, exec_lo, s4
.LBB81_26:
	s_and_not1_saveexec_b32 s0, s3
	s_delay_alu instid0(SALU_CYCLE_1)
	s_or_b32 exec_lo, exec_lo, s0
                                        ; implicit-def: $vgpr0_vgpr1
                                        ; implicit-def: $vgpr2
.LBB81_27:
	s_and_not1_saveexec_b32 s0, s2
; %bb.28:
	v_cmp_eq_u64_e32 vcc_lo, 0, v[0:1]
	v_cndmask_b32_e32 v5, v2, v5, vcc_lo
; %bb.29:
	s_or_b32 exec_lo, exec_lo, s0
	v_add_co_u32 v0, vcc_lo, s16, v6
	v_add_co_ci_u32_e32 v1, vcc_lo, s17, v7, vcc_lo
	global_store_b8 v[0:1], v5, off
.LBB81_30:
	s_nop 0
	s_sendmsg sendmsg(MSG_DEALLOC_VGPRS)
	s_endpgm
	.section	.rodata,"a",@progbits
	.p2align	6, 0x0
	.amdhsa_kernel _Z11fill_kernelI13hipblaslt_bf8Z21hipblaslt_init_deviceIS0_Ev8ABC_dims24hipblaslt_initializationbPT_mmmmmEUlmE3_EvS5_mmT0_
		.amdhsa_group_segment_fixed_size 0
		.amdhsa_private_segment_fixed_size 0
		.amdhsa_kernarg_size 312
		.amdhsa_user_sgpr_count 15
		.amdhsa_user_sgpr_dispatch_ptr 0
		.amdhsa_user_sgpr_queue_ptr 0
		.amdhsa_user_sgpr_kernarg_segment_ptr 1
		.amdhsa_user_sgpr_dispatch_id 0
		.amdhsa_user_sgpr_private_segment_size 0
		.amdhsa_wavefront_size32 1
		.amdhsa_uses_dynamic_stack 0
		.amdhsa_enable_private_segment 0
		.amdhsa_system_sgpr_workgroup_id_x 1
		.amdhsa_system_sgpr_workgroup_id_y 0
		.amdhsa_system_sgpr_workgroup_id_z 0
		.amdhsa_system_sgpr_workgroup_info 0
		.amdhsa_system_vgpr_workitem_id 0
		.amdhsa_next_free_vgpr 33
		.amdhsa_next_free_sgpr 20
		.amdhsa_reserve_vcc 1
		.amdhsa_float_round_mode_32 0
		.amdhsa_float_round_mode_16_64 0
		.amdhsa_float_denorm_mode_32 3
		.amdhsa_float_denorm_mode_16_64 3
		.amdhsa_dx10_clamp 1
		.amdhsa_ieee_mode 1
		.amdhsa_fp16_overflow 0
		.amdhsa_workgroup_processor_mode 1
		.amdhsa_memory_ordered 1
		.amdhsa_forward_progress 0
		.amdhsa_shared_vgpr_count 0
		.amdhsa_exception_fp_ieee_invalid_op 0
		.amdhsa_exception_fp_denorm_src 0
		.amdhsa_exception_fp_ieee_div_zero 0
		.amdhsa_exception_fp_ieee_overflow 0
		.amdhsa_exception_fp_ieee_underflow 0
		.amdhsa_exception_fp_ieee_inexact 0
		.amdhsa_exception_int_div_zero 0
	.end_amdhsa_kernel
	.section	.text._Z11fill_kernelI13hipblaslt_bf8Z21hipblaslt_init_deviceIS0_Ev8ABC_dims24hipblaslt_initializationbPT_mmmmmEUlmE3_EvS5_mmT0_,"axG",@progbits,_Z11fill_kernelI13hipblaslt_bf8Z21hipblaslt_init_deviceIS0_Ev8ABC_dims24hipblaslt_initializationbPT_mmmmmEUlmE3_EvS5_mmT0_,comdat
.Lfunc_end81:
	.size	_Z11fill_kernelI13hipblaslt_bf8Z21hipblaslt_init_deviceIS0_Ev8ABC_dims24hipblaslt_initializationbPT_mmmmmEUlmE3_EvS5_mmT0_, .Lfunc_end81-_Z11fill_kernelI13hipblaslt_bf8Z21hipblaslt_init_deviceIS0_Ev8ABC_dims24hipblaslt_initializationbPT_mmmmmEUlmE3_EvS5_mmT0_
                                        ; -- End function
	.section	.AMDGPU.csdata,"",@progbits
; Kernel info:
; codeLenInByte = 4168
; NumSgprs: 22
; NumVgprs: 33
; ScratchSize: 0
; MemoryBound: 0
; FloatMode: 240
; IeeeMode: 1
; LDSByteSize: 0 bytes/workgroup (compile time only)
; SGPRBlocks: 2
; VGPRBlocks: 4
; NumSGPRsForWavesPerEU: 22
; NumVGPRsForWavesPerEU: 33
; Occupancy: 16
; WaveLimiterHint : 0
; COMPUTE_PGM_RSRC2:SCRATCH_EN: 0
; COMPUTE_PGM_RSRC2:USER_SGPR: 15
; COMPUTE_PGM_RSRC2:TRAP_HANDLER: 0
; COMPUTE_PGM_RSRC2:TGID_X_EN: 1
; COMPUTE_PGM_RSRC2:TGID_Y_EN: 0
; COMPUTE_PGM_RSRC2:TGID_Z_EN: 0
; COMPUTE_PGM_RSRC2:TIDIG_COMP_CNT: 0
	.section	.text._Z11fill_kernelI13hipblaslt_bf8Z21hipblaslt_init_deviceIS0_Ev8ABC_dims24hipblaslt_initializationbPT_mmmmmEUlmE4_EvS5_mmT0_,"axG",@progbits,_Z11fill_kernelI13hipblaslt_bf8Z21hipblaslt_init_deviceIS0_Ev8ABC_dims24hipblaslt_initializationbPT_mmmmmEUlmE4_EvS5_mmT0_,comdat
	.protected	_Z11fill_kernelI13hipblaslt_bf8Z21hipblaslt_init_deviceIS0_Ev8ABC_dims24hipblaslt_initializationbPT_mmmmmEUlmE4_EvS5_mmT0_ ; -- Begin function _Z11fill_kernelI13hipblaslt_bf8Z21hipblaslt_init_deviceIS0_Ev8ABC_dims24hipblaslt_initializationbPT_mmmmmEUlmE4_EvS5_mmT0_
	.globl	_Z11fill_kernelI13hipblaslt_bf8Z21hipblaslt_init_deviceIS0_Ev8ABC_dims24hipblaslt_initializationbPT_mmmmmEUlmE4_EvS5_mmT0_
	.p2align	8
	.type	_Z11fill_kernelI13hipblaslt_bf8Z21hipblaslt_init_deviceIS0_Ev8ABC_dims24hipblaslt_initializationbPT_mmmmmEUlmE4_EvS5_mmT0_,@function
_Z11fill_kernelI13hipblaslt_bf8Z21hipblaslt_init_deviceIS0_Ev8ABC_dims24hipblaslt_initializationbPT_mmmmmEUlmE4_EvS5_mmT0_: ; @_Z11fill_kernelI13hipblaslt_bf8Z21hipblaslt_init_deviceIS0_Ev8ABC_dims24hipblaslt_initializationbPT_mmmmmEUlmE4_EvS5_mmT0_
; %bb.0:
	s_clause 0x1
	s_load_b32 s2, s[0:1], 0x2c
	s_load_b128 s[4:7], s[0:1], 0x0
	s_waitcnt lgkmcnt(0)
	s_and_b32 s2, s2, 0xffff
	s_delay_alu instid0(SALU_CYCLE_1) | instskip(SKIP_2) | instid1(VALU_DEP_1)
	v_mad_u64_u32 v[1:2], null, s15, s2, v[0:1]
	v_mov_b32_e32 v2, 0
	s_mov_b32 s2, exec_lo
	v_cmpx_gt_u64_e64 s[6:7], v[1:2]
	s_cbranch_execz .LBB82_18
; %bb.1:
	s_load_b64 s[0:1], s[0:1], 0x10
	s_mov_b32 s2, 0x19660d
	s_waitcnt lgkmcnt(0)
	v_add_co_u32 v5, s0, v1, s0
	s_delay_alu instid0(VALU_DEP_1) | instskip(SKIP_1) | instid1(VALU_DEP_2)
	v_add_co_ci_u32_e64 v6, null, 0, s1, s0
	s_mov_b32 s0, 0xffe00000
	v_mad_u64_u32 v[0:1], null, v5, s2, 0x3c6ef35f
	s_mov_b32 s1, 0x41efffff
	s_delay_alu instid0(VALU_DEP_1) | instskip(NEXT) | instid1(VALU_DEP_1)
	v_mad_u64_u32 v[3:4], null, 0x19660d, v6, v[1:2]
	v_mov_b32_e32 v1, v3
	s_delay_alu instid0(VALU_DEP_1) | instskip(NEXT) | instid1(VALU_DEP_1)
	v_lshlrev_b64 v[3:4], 13, v[0:1]
	v_xor_b32_e32 v1, v4, v1
	s_delay_alu instid0(VALU_DEP_2) | instskip(NEXT) | instid1(VALU_DEP_1)
	v_xor_b32_e32 v0, v3, v0
	v_lshrrev_b64 v[3:4], 17, v[0:1]
	s_delay_alu instid0(VALU_DEP_1) | instskip(NEXT) | instid1(VALU_DEP_2)
	v_xor_b32_e32 v1, v4, v1
	v_xor_b32_e32 v0, v3, v0
	s_delay_alu instid0(VALU_DEP_1) | instskip(NEXT) | instid1(VALU_DEP_1)
	v_lshlrev_b64 v[3:4], 5, v[0:1]
	v_xor_b32_e32 v1, v4, v1
	s_delay_alu instid0(VALU_DEP_2) | instskip(NEXT) | instid1(VALU_DEP_1)
	v_xor_b32_e32 v0, v3, v0
	v_lshlrev_b64 v[3:4], 13, v[0:1]
	s_delay_alu instid0(VALU_DEP_1) | instskip(NEXT) | instid1(VALU_DEP_2)
	v_xor_b32_e32 v1, v4, v1
	v_xor_b32_e32 v0, v3, v0
	s_delay_alu instid0(VALU_DEP_1) | instskip(NEXT) | instid1(VALU_DEP_1)
	v_lshrrev_b64 v[3:4], 17, v[0:1]
	v_xor_b32_e32 v1, v4, v1
	s_delay_alu instid0(VALU_DEP_2) | instskip(NEXT) | instid1(VALU_DEP_1)
	v_xor_b32_e32 v0, v3, v0
	v_lshlrev_b64 v[3:4], 5, v[0:1]
	s_delay_alu instid0(VALU_DEP_1) | instskip(NEXT) | instid1(VALU_DEP_2)
	v_xor_b32_e32 v1, v4, v1
	v_xor_b32_e32 v0, v3, v0
	s_delay_alu instid0(VALU_DEP_1) | instskip(NEXT) | instid1(VALU_DEP_1)
	v_lshlrev_b64 v[3:4], 13, v[0:1]
	v_xor_b32_e32 v1, v4, v1
	s_delay_alu instid0(VALU_DEP_2) | instskip(NEXT) | instid1(VALU_DEP_1)
	v_xor_b32_e32 v0, v3, v0
	v_alignbit_b32 v1, v1, v0, 17
	s_delay_alu instid0(VALU_DEP_1) | instskip(NEXT) | instid1(VALU_DEP_1)
	v_xor_b32_e32 v0, v1, v0
	v_lshlrev_b32_e32 v1, 5, v0
	s_delay_alu instid0(VALU_DEP_1) | instskip(NEXT) | instid1(VALU_DEP_1)
	v_xor_b32_e32 v0, v1, v0
	v_cvt_f64_u32_e32 v[0:1], v0
	s_delay_alu instid0(VALU_DEP_1) | instskip(NEXT) | instid1(VALU_DEP_1)
	v_div_scale_f64 v[3:4], null, s[0:1], s[0:1], v[0:1]
	v_rcp_f64_e32 v[7:8], v[3:4]
	s_waitcnt_depctr 0xfff
	v_fma_f64 v[9:10], -v[3:4], v[7:8], 1.0
	s_delay_alu instid0(VALU_DEP_1) | instskip(NEXT) | instid1(VALU_DEP_1)
	v_fma_f64 v[7:8], v[7:8], v[9:10], v[7:8]
	v_fma_f64 v[9:10], -v[3:4], v[7:8], 1.0
	s_delay_alu instid0(VALU_DEP_1) | instskip(SKIP_1) | instid1(VALU_DEP_1)
	v_fma_f64 v[7:8], v[7:8], v[9:10], v[7:8]
	v_div_scale_f64 v[9:10], vcc_lo, v[0:1], s[0:1], v[0:1]
	v_mul_f64 v[11:12], v[9:10], v[7:8]
	s_delay_alu instid0(VALU_DEP_1) | instskip(SKIP_1) | instid1(VALU_DEP_2)
	v_fma_f64 v[3:4], -v[3:4], v[11:12], v[9:10]
	v_mov_b32_e32 v9, v2
	v_div_fmas_f64 v[3:4], v[3:4], v[7:8], v[11:12]
	s_delay_alu instid0(VALU_DEP_1) | instskip(SKIP_2) | instid1(VALU_DEP_1)
	v_div_fixup_f64 v[0:1], v[3:4], s[0:1], v[0:1]
	s_mov_b32 s0, 0
	s_mov_b32 s1, 0x7ff00000
	v_add_f64 v[3:4], v[0:1], -0.5
	s_delay_alu instid0(VALU_DEP_1) | instskip(NEXT) | instid1(VALU_DEP_2)
	v_mov_b32_e32 v0, v3
	v_lshrrev_b32_e32 v8, 24, v4
	v_and_b32_e32 v10, 0x7ff00000, v4
	v_and_b32_e32 v1, 0xfffff, v4
	s_delay_alu instid0(VALU_DEP_3) | instskip(NEXT) | instid1(VALU_DEP_3)
	v_and_b32_e32 v7, 0x80, v8
	v_cmp_ne_u64_e32 vcc_lo, s[0:1], v[9:10]
	s_delay_alu instid0(VALU_DEP_2) | instskip(SKIP_1) | instid1(SALU_CYCLE_1)
	v_or_b32_e32 v2, 0x7b, v7
	s_and_saveexec_b32 s0, vcc_lo
	s_xor_b32 s2, exec_lo, s0
	s_cbranch_execz .LBB82_15
; %bb.2:
	v_dual_mov_b32 v8, v3 :: v_dual_and_b32 v9, 0x7fffffff, v4
	s_mov_b32 s0, 1
	s_mov_b32 s1, 0x40ec0000
	s_delay_alu instid0(VALU_DEP_1) | instid1(SALU_CYCLE_1)
	v_cmp_gt_u64_e32 vcc_lo, s[0:1], v[8:9]
	s_and_saveexec_b32 s0, vcc_lo
	s_delay_alu instid0(SALU_CYCLE_1)
	s_xor_b32 s3, exec_lo, s0
	s_cbranch_execz .LBB82_14
; %bb.3:
	v_mov_b32_e32 v2, 0
	s_mov_b32 s6, exec_lo
	v_cmpx_ne_u64_e32 0, v[3:4]
	s_cbranch_execz .LBB82_13
; %bb.4:
	v_bfe_u32 v4, v4, 20, 11
	s_delay_alu instid0(VALU_DEP_1) | instskip(SKIP_1) | instid1(VALU_DEP_2)
	v_sub_nc_u32_e64 v2, 0x3f1, v4 clamp
	v_cmp_eq_u32_e32 vcc_lo, 0, v4
	v_cndmask_b32_e64 v8, v2, 0x3f0, vcc_lo
	v_or_b32_e32 v2, 0x100000, v1
	s_delay_alu instid0(VALU_DEP_2) | instskip(NEXT) | instid1(VALU_DEP_2)
	v_add_nc_u32_e32 v3, 50, v8
	v_cndmask_b32_e32 v1, v2, v1, vcc_lo
	v_add_nc_u32_e32 v11, 49, v8
	s_delay_alu instid0(VALU_DEP_3) | instskip(NEXT) | instid1(VALU_DEP_3)
	v_lshlrev_b64 v[2:3], v3, -1
	v_lshrrev_b64 v[9:10], v8, v[0:1]
	s_delay_alu instid0(VALU_DEP_3) | instskip(NEXT) | instid1(VALU_DEP_3)
	v_lshlrev_b64 v[11:12], v11, 1
	v_not_b32_e32 v13, v3
	s_delay_alu instid0(VALU_DEP_4) | instskip(NEXT) | instid1(VALU_DEP_4)
	v_not_b32_e32 v14, v2
	v_dual_mov_b32 v2, 0 :: v_dual_and_b32 v3, 0x40000, v10
	s_delay_alu instid0(VALU_DEP_2) | instskip(NEXT) | instid1(VALU_DEP_4)
	v_and_b32_e32 v0, v0, v14
	v_and_b32_e32 v1, v1, v13
	s_delay_alu instid0(VALU_DEP_3) | instskip(SKIP_1) | instid1(VALU_DEP_3)
	v_cmp_eq_u64_e64 s0, 0, v[2:3]
	v_lshrrev_b32_e32 v3, 20, v10
	v_cmp_eq_u64_e64 s1, v[0:1], v[11:12]
	v_add_nc_u32_e32 v0, 0xfffffc10, v4
	s_delay_alu instid0(VALU_DEP_1) | instskip(NEXT) | instid1(VALU_DEP_3)
	v_cndmask_b32_e64 v0, v0, 0xfffffc11, vcc_lo
	s_and_b32 s0, s0, s1
	s_delay_alu instid0(SALU_CYCLE_1) | instskip(SKIP_1) | instid1(VALU_DEP_2)
	v_cndmask_b32_e64 v1, 0, 1, s0
	s_mov_b32 s0, exec_lo
	v_add3_u32 v4, v0, v8, v3
	s_delay_alu instid0(VALU_DEP_2) | instskip(SKIP_1) | instid1(VALU_DEP_3)
	v_sub_co_u32 v1, vcc_lo, v9, v1
	v_subrev_co_ci_u32_e32 v11, vcc_lo, 0, v10, vcc_lo
	v_add_nc_u32_e32 v8, -1, v4
	s_delay_alu instid0(VALU_DEP_3) | instskip(NEXT) | instid1(VALU_DEP_3)
	v_add_co_u32 v0, vcc_lo, v1, v9
	v_and_b32_e32 v3, 0x3ffff, v11
	s_delay_alu instid0(VALU_DEP_1) | instskip(NEXT) | instid1(VALU_DEP_4)
	v_add_co_ci_u32_e32 v1, vcc_lo, v3, v10, vcc_lo
                                        ; implicit-def: $vgpr3
	v_cmpx_ne_u32_e32 0, v8
	s_xor_b32 s0, exec_lo, s0
; %bb.5:
	s_delay_alu instid0(VALU_DEP_2) | instskip(SKIP_1) | instid1(VALU_DEP_2)
	v_and_b32_e32 v3, 0x200000, v1
	v_bfe_u32 v9, v1, 21, 1
	v_cmp_eq_u64_e32 vcc_lo, 0, v[2:3]
	s_delay_alu instid0(VALU_DEP_2)
	v_lshrrev_b64 v[0:1], v9, v[0:1]
	v_cndmask_b32_e32 v3, v4, v8, vcc_lo
; %bb.6:
	s_and_not1_saveexec_b32 s0, s0
; %bb.7:
	s_delay_alu instid0(VALU_DEP_2)
	v_bfe_u32 v3, v1, 20, 1
; %bb.8:
	s_or_b32 exec_lo, exec_lo, s0
	v_lshrrev_b32_e32 v0, 18, v1
	s_delay_alu instid0(VALU_DEP_2) | instskip(SKIP_1) | instid1(VALU_DEP_3)
	v_cmp_gt_i32_e32 vcc_lo, 32, v3
	v_cmp_ne_u32_e64 s0, 0, v3
                                        ; implicit-def: $vgpr2
	v_dual_mov_b32 v1, 0 :: v_dual_cndmask_b32 v0, 3, v0
	s_delay_alu instid0(VALU_DEP_1) | instskip(NEXT) | instid1(VALU_DEP_3)
	v_cmp_ne_u64_e32 vcc_lo, 0, v[0:1]
	s_or_b32 s0, s0, vcc_lo
	s_delay_alu instid0(SALU_CYCLE_1) | instskip(NEXT) | instid1(SALU_CYCLE_1)
	s_and_saveexec_b32 s1, s0
	s_xor_b32 s0, exec_lo, s1
; %bb.9:
	v_min_i32_e32 v1, 31, v3
	s_delay_alu instid0(VALU_DEP_1) | instskip(NEXT) | instid1(VALU_DEP_1)
	v_lshl_or_b32 v1, v1, 2, v7
                                        ; implicit-def: $vgpr7
	v_and_or_b32 v2, v0, 3, v1
; %bb.10:
	s_and_not1_saveexec_b32 s0, s0
; %bb.11:
	v_mov_b32_e32 v2, v7
; %bb.12:
	s_or_b32 exec_lo, exec_lo, s0
.LBB82_13:
	s_delay_alu instid0(SALU_CYCLE_1)
	s_or_b32 exec_lo, exec_lo, s6
.LBB82_14:
	s_and_not1_saveexec_b32 s0, s3
	s_delay_alu instid0(SALU_CYCLE_1)
	s_or_b32 exec_lo, exec_lo, s0
                                        ; implicit-def: $vgpr0_vgpr1
                                        ; implicit-def: $vgpr8
.LBB82_15:
	s_and_not1_saveexec_b32 s0, s2
; %bb.16:
	v_cmp_eq_u64_e32 vcc_lo, 0, v[0:1]
	v_cndmask_b32_e32 v2, v8, v2, vcc_lo
; %bb.17:
	s_or_b32 exec_lo, exec_lo, s0
	v_add_co_u32 v0, vcc_lo, s4, v5
	v_add_co_ci_u32_e32 v1, vcc_lo, s5, v6, vcc_lo
	global_store_b8 v[0:1], v2, off
.LBB82_18:
	s_nop 0
	s_sendmsg sendmsg(MSG_DEALLOC_VGPRS)
	s_endpgm
	.section	.rodata,"a",@progbits
	.p2align	6, 0x0
	.amdhsa_kernel _Z11fill_kernelI13hipblaslt_bf8Z21hipblaslt_init_deviceIS0_Ev8ABC_dims24hipblaslt_initializationbPT_mmmmmEUlmE4_EvS5_mmT0_
		.amdhsa_group_segment_fixed_size 0
		.amdhsa_private_segment_fixed_size 0
		.amdhsa_kernarg_size 288
		.amdhsa_user_sgpr_count 15
		.amdhsa_user_sgpr_dispatch_ptr 0
		.amdhsa_user_sgpr_queue_ptr 0
		.amdhsa_user_sgpr_kernarg_segment_ptr 1
		.amdhsa_user_sgpr_dispatch_id 0
		.amdhsa_user_sgpr_private_segment_size 0
		.amdhsa_wavefront_size32 1
		.amdhsa_uses_dynamic_stack 0
		.amdhsa_enable_private_segment 0
		.amdhsa_system_sgpr_workgroup_id_x 1
		.amdhsa_system_sgpr_workgroup_id_y 0
		.amdhsa_system_sgpr_workgroup_id_z 0
		.amdhsa_system_sgpr_workgroup_info 0
		.amdhsa_system_vgpr_workitem_id 0
		.amdhsa_next_free_vgpr 15
		.amdhsa_next_free_sgpr 16
		.amdhsa_reserve_vcc 1
		.amdhsa_float_round_mode_32 0
		.amdhsa_float_round_mode_16_64 0
		.amdhsa_float_denorm_mode_32 3
		.amdhsa_float_denorm_mode_16_64 3
		.amdhsa_dx10_clamp 1
		.amdhsa_ieee_mode 1
		.amdhsa_fp16_overflow 0
		.amdhsa_workgroup_processor_mode 1
		.amdhsa_memory_ordered 1
		.amdhsa_forward_progress 0
		.amdhsa_shared_vgpr_count 0
		.amdhsa_exception_fp_ieee_invalid_op 0
		.amdhsa_exception_fp_denorm_src 0
		.amdhsa_exception_fp_ieee_div_zero 0
		.amdhsa_exception_fp_ieee_overflow 0
		.amdhsa_exception_fp_ieee_underflow 0
		.amdhsa_exception_fp_ieee_inexact 0
		.amdhsa_exception_int_div_zero 0
	.end_amdhsa_kernel
	.section	.text._Z11fill_kernelI13hipblaslt_bf8Z21hipblaslt_init_deviceIS0_Ev8ABC_dims24hipblaslt_initializationbPT_mmmmmEUlmE4_EvS5_mmT0_,"axG",@progbits,_Z11fill_kernelI13hipblaslt_bf8Z21hipblaslt_init_deviceIS0_Ev8ABC_dims24hipblaslt_initializationbPT_mmmmmEUlmE4_EvS5_mmT0_,comdat
.Lfunc_end82:
	.size	_Z11fill_kernelI13hipblaslt_bf8Z21hipblaslt_init_deviceIS0_Ev8ABC_dims24hipblaslt_initializationbPT_mmmmmEUlmE4_EvS5_mmT0_, .Lfunc_end82-_Z11fill_kernelI13hipblaslt_bf8Z21hipblaslt_init_deviceIS0_Ev8ABC_dims24hipblaslt_initializationbPT_mmmmmEUlmE4_EvS5_mmT0_
                                        ; -- End function
	.section	.AMDGPU.csdata,"",@progbits
; Kernel info:
; codeLenInByte = 1084
; NumSgprs: 18
; NumVgprs: 15
; ScratchSize: 0
; MemoryBound: 0
; FloatMode: 240
; IeeeMode: 1
; LDSByteSize: 0 bytes/workgroup (compile time only)
; SGPRBlocks: 2
; VGPRBlocks: 1
; NumSGPRsForWavesPerEU: 18
; NumVGPRsForWavesPerEU: 15
; Occupancy: 16
; WaveLimiterHint : 0
; COMPUTE_PGM_RSRC2:SCRATCH_EN: 0
; COMPUTE_PGM_RSRC2:USER_SGPR: 15
; COMPUTE_PGM_RSRC2:TRAP_HANDLER: 0
; COMPUTE_PGM_RSRC2:TGID_X_EN: 1
; COMPUTE_PGM_RSRC2:TGID_Y_EN: 0
; COMPUTE_PGM_RSRC2:TGID_Z_EN: 0
; COMPUTE_PGM_RSRC2:TIDIG_COMP_CNT: 0
	.section	.text._Z11fill_kernelI13hipblaslt_bf8Z21hipblaslt_init_deviceIS0_Ev8ABC_dims24hipblaslt_initializationbPT_mmmmmEUlmE5_EvS5_mmT0_,"axG",@progbits,_Z11fill_kernelI13hipblaslt_bf8Z21hipblaslt_init_deviceIS0_Ev8ABC_dims24hipblaslt_initializationbPT_mmmmmEUlmE5_EvS5_mmT0_,comdat
	.protected	_Z11fill_kernelI13hipblaslt_bf8Z21hipblaslt_init_deviceIS0_Ev8ABC_dims24hipblaslt_initializationbPT_mmmmmEUlmE5_EvS5_mmT0_ ; -- Begin function _Z11fill_kernelI13hipblaslt_bf8Z21hipblaslt_init_deviceIS0_Ev8ABC_dims24hipblaslt_initializationbPT_mmmmmEUlmE5_EvS5_mmT0_
	.globl	_Z11fill_kernelI13hipblaslt_bf8Z21hipblaslt_init_deviceIS0_Ev8ABC_dims24hipblaslt_initializationbPT_mmmmmEUlmE5_EvS5_mmT0_
	.p2align	8
	.type	_Z11fill_kernelI13hipblaslt_bf8Z21hipblaslt_init_deviceIS0_Ev8ABC_dims24hipblaslt_initializationbPT_mmmmmEUlmE5_EvS5_mmT0_,@function
_Z11fill_kernelI13hipblaslt_bf8Z21hipblaslt_init_deviceIS0_Ev8ABC_dims24hipblaslt_initializationbPT_mmmmmEUlmE5_EvS5_mmT0_: ; @_Z11fill_kernelI13hipblaslt_bf8Z21hipblaslt_init_deviceIS0_Ev8ABC_dims24hipblaslt_initializationbPT_mmmmmEUlmE5_EvS5_mmT0_
; %bb.0:
	s_clause 0x1
	s_load_b32 s2, s[0:1], 0x2c
	s_load_b128 s[4:7], s[0:1], 0x0
	s_waitcnt lgkmcnt(0)
	s_and_b32 s2, s2, 0xffff
	s_delay_alu instid0(SALU_CYCLE_1) | instskip(SKIP_2) | instid1(VALU_DEP_1)
	v_mad_u64_u32 v[1:2], null, s15, s2, v[0:1]
	v_mov_b32_e32 v2, 0
	s_mov_b32 s2, exec_lo
	v_cmpx_gt_u64_e64 s[6:7], v[1:2]
	s_cbranch_execz .LBB83_2
; %bb.1:
	s_load_b64 s[0:1], s[0:1], 0x10
	v_mov_b32_e32 v2, 0x7b
	s_waitcnt lgkmcnt(0)
	s_add_u32 s0, s0, s4
	s_addc_u32 s1, s1, s5
	v_add_co_u32 v0, s0, s0, v1
	s_delay_alu instid0(VALU_DEP_1)
	v_add_co_ci_u32_e64 v1, null, s1, 0, s0
	global_store_b8 v[0:1], v2, off
.LBB83_2:
	s_nop 0
	s_sendmsg sendmsg(MSG_DEALLOC_VGPRS)
	s_endpgm
	.section	.rodata,"a",@progbits
	.p2align	6, 0x0
	.amdhsa_kernel _Z11fill_kernelI13hipblaslt_bf8Z21hipblaslt_init_deviceIS0_Ev8ABC_dims24hipblaslt_initializationbPT_mmmmmEUlmE5_EvS5_mmT0_
		.amdhsa_group_segment_fixed_size 0
		.amdhsa_private_segment_fixed_size 0
		.amdhsa_kernarg_size 288
		.amdhsa_user_sgpr_count 15
		.amdhsa_user_sgpr_dispatch_ptr 0
		.amdhsa_user_sgpr_queue_ptr 0
		.amdhsa_user_sgpr_kernarg_segment_ptr 1
		.amdhsa_user_sgpr_dispatch_id 0
		.amdhsa_user_sgpr_private_segment_size 0
		.amdhsa_wavefront_size32 1
		.amdhsa_uses_dynamic_stack 0
		.amdhsa_enable_private_segment 0
		.amdhsa_system_sgpr_workgroup_id_x 1
		.amdhsa_system_sgpr_workgroup_id_y 0
		.amdhsa_system_sgpr_workgroup_id_z 0
		.amdhsa_system_sgpr_workgroup_info 0
		.amdhsa_system_vgpr_workitem_id 0
		.amdhsa_next_free_vgpr 3
		.amdhsa_next_free_sgpr 16
		.amdhsa_reserve_vcc 0
		.amdhsa_float_round_mode_32 0
		.amdhsa_float_round_mode_16_64 0
		.amdhsa_float_denorm_mode_32 3
		.amdhsa_float_denorm_mode_16_64 3
		.amdhsa_dx10_clamp 1
		.amdhsa_ieee_mode 1
		.amdhsa_fp16_overflow 0
		.amdhsa_workgroup_processor_mode 1
		.amdhsa_memory_ordered 1
		.amdhsa_forward_progress 0
		.amdhsa_shared_vgpr_count 0
		.amdhsa_exception_fp_ieee_invalid_op 0
		.amdhsa_exception_fp_denorm_src 0
		.amdhsa_exception_fp_ieee_div_zero 0
		.amdhsa_exception_fp_ieee_overflow 0
		.amdhsa_exception_fp_ieee_underflow 0
		.amdhsa_exception_fp_ieee_inexact 0
		.amdhsa_exception_int_div_zero 0
	.end_amdhsa_kernel
	.section	.text._Z11fill_kernelI13hipblaslt_bf8Z21hipblaslt_init_deviceIS0_Ev8ABC_dims24hipblaslt_initializationbPT_mmmmmEUlmE5_EvS5_mmT0_,"axG",@progbits,_Z11fill_kernelI13hipblaslt_bf8Z21hipblaslt_init_deviceIS0_Ev8ABC_dims24hipblaslt_initializationbPT_mmmmmEUlmE5_EvS5_mmT0_,comdat
.Lfunc_end83:
	.size	_Z11fill_kernelI13hipblaslt_bf8Z21hipblaslt_init_deviceIS0_Ev8ABC_dims24hipblaslt_initializationbPT_mmmmmEUlmE5_EvS5_mmT0_, .Lfunc_end83-_Z11fill_kernelI13hipblaslt_bf8Z21hipblaslt_init_deviceIS0_Ev8ABC_dims24hipblaslt_initializationbPT_mmmmmEUlmE5_EvS5_mmT0_
                                        ; -- End function
	.section	.AMDGPU.csdata,"",@progbits
; Kernel info:
; codeLenInByte = 132
; NumSgprs: 16
; NumVgprs: 3
; ScratchSize: 0
; MemoryBound: 0
; FloatMode: 240
; IeeeMode: 1
; LDSByteSize: 0 bytes/workgroup (compile time only)
; SGPRBlocks: 1
; VGPRBlocks: 0
; NumSGPRsForWavesPerEU: 16
; NumVGPRsForWavesPerEU: 3
; Occupancy: 16
; WaveLimiterHint : 0
; COMPUTE_PGM_RSRC2:SCRATCH_EN: 0
; COMPUTE_PGM_RSRC2:USER_SGPR: 15
; COMPUTE_PGM_RSRC2:TRAP_HANDLER: 0
; COMPUTE_PGM_RSRC2:TGID_X_EN: 1
; COMPUTE_PGM_RSRC2:TGID_Y_EN: 0
; COMPUTE_PGM_RSRC2:TGID_Z_EN: 0
; COMPUTE_PGM_RSRC2:TIDIG_COMP_CNT: 0
	.section	.text._Z11fill_kernelI13hipblaslt_bf8Z21hipblaslt_init_deviceIS0_Ev8ABC_dims24hipblaslt_initializationbPT_mmmmmEUlmE6_EvS5_mmT0_,"axG",@progbits,_Z11fill_kernelI13hipblaslt_bf8Z21hipblaslt_init_deviceIS0_Ev8ABC_dims24hipblaslt_initializationbPT_mmmmmEUlmE6_EvS5_mmT0_,comdat
	.protected	_Z11fill_kernelI13hipblaslt_bf8Z21hipblaslt_init_deviceIS0_Ev8ABC_dims24hipblaslt_initializationbPT_mmmmmEUlmE6_EvS5_mmT0_ ; -- Begin function _Z11fill_kernelI13hipblaslt_bf8Z21hipblaslt_init_deviceIS0_Ev8ABC_dims24hipblaslt_initializationbPT_mmmmmEUlmE6_EvS5_mmT0_
	.globl	_Z11fill_kernelI13hipblaslt_bf8Z21hipblaslt_init_deviceIS0_Ev8ABC_dims24hipblaslt_initializationbPT_mmmmmEUlmE6_EvS5_mmT0_
	.p2align	8
	.type	_Z11fill_kernelI13hipblaslt_bf8Z21hipblaslt_init_deviceIS0_Ev8ABC_dims24hipblaslt_initializationbPT_mmmmmEUlmE6_EvS5_mmT0_,@function
_Z11fill_kernelI13hipblaslt_bf8Z21hipblaslt_init_deviceIS0_Ev8ABC_dims24hipblaslt_initializationbPT_mmmmmEUlmE6_EvS5_mmT0_: ; @_Z11fill_kernelI13hipblaslt_bf8Z21hipblaslt_init_deviceIS0_Ev8ABC_dims24hipblaslt_initializationbPT_mmmmmEUlmE6_EvS5_mmT0_
; %bb.0:
	s_clause 0x1
	s_load_b32 s2, s[0:1], 0x2c
	s_load_b128 s[4:7], s[0:1], 0x0
	s_waitcnt lgkmcnt(0)
	s_and_b32 s2, s2, 0xffff
	s_delay_alu instid0(SALU_CYCLE_1) | instskip(SKIP_2) | instid1(VALU_DEP_1)
	v_mad_u64_u32 v[1:2], null, s15, s2, v[0:1]
	v_mov_b32_e32 v2, 0
	s_mov_b32 s2, exec_lo
	v_cmpx_gt_u64_e64 s[6:7], v[1:2]
	s_cbranch_execz .LBB84_2
; %bb.1:
	s_load_b64 s[0:1], s[0:1], 0x10
	v_mov_b32_e32 v2, 4
	s_waitcnt lgkmcnt(0)
	s_add_u32 s0, s0, s4
	s_addc_u32 s1, s1, s5
	v_add_co_u32 v0, s0, s0, v1
	s_delay_alu instid0(VALU_DEP_1)
	v_add_co_ci_u32_e64 v1, null, s1, 0, s0
	global_store_b8 v[0:1], v2, off
.LBB84_2:
	s_nop 0
	s_sendmsg sendmsg(MSG_DEALLOC_VGPRS)
	s_endpgm
	.section	.rodata,"a",@progbits
	.p2align	6, 0x0
	.amdhsa_kernel _Z11fill_kernelI13hipblaslt_bf8Z21hipblaslt_init_deviceIS0_Ev8ABC_dims24hipblaslt_initializationbPT_mmmmmEUlmE6_EvS5_mmT0_
		.amdhsa_group_segment_fixed_size 0
		.amdhsa_private_segment_fixed_size 0
		.amdhsa_kernarg_size 288
		.amdhsa_user_sgpr_count 15
		.amdhsa_user_sgpr_dispatch_ptr 0
		.amdhsa_user_sgpr_queue_ptr 0
		.amdhsa_user_sgpr_kernarg_segment_ptr 1
		.amdhsa_user_sgpr_dispatch_id 0
		.amdhsa_user_sgpr_private_segment_size 0
		.amdhsa_wavefront_size32 1
		.amdhsa_uses_dynamic_stack 0
		.amdhsa_enable_private_segment 0
		.amdhsa_system_sgpr_workgroup_id_x 1
		.amdhsa_system_sgpr_workgroup_id_y 0
		.amdhsa_system_sgpr_workgroup_id_z 0
		.amdhsa_system_sgpr_workgroup_info 0
		.amdhsa_system_vgpr_workitem_id 0
		.amdhsa_next_free_vgpr 3
		.amdhsa_next_free_sgpr 16
		.amdhsa_reserve_vcc 0
		.amdhsa_float_round_mode_32 0
		.amdhsa_float_round_mode_16_64 0
		.amdhsa_float_denorm_mode_32 3
		.amdhsa_float_denorm_mode_16_64 3
		.amdhsa_dx10_clamp 1
		.amdhsa_ieee_mode 1
		.amdhsa_fp16_overflow 0
		.amdhsa_workgroup_processor_mode 1
		.amdhsa_memory_ordered 1
		.amdhsa_forward_progress 0
		.amdhsa_shared_vgpr_count 0
		.amdhsa_exception_fp_ieee_invalid_op 0
		.amdhsa_exception_fp_denorm_src 0
		.amdhsa_exception_fp_ieee_div_zero 0
		.amdhsa_exception_fp_ieee_overflow 0
		.amdhsa_exception_fp_ieee_underflow 0
		.amdhsa_exception_fp_ieee_inexact 0
		.amdhsa_exception_int_div_zero 0
	.end_amdhsa_kernel
	.section	.text._Z11fill_kernelI13hipblaslt_bf8Z21hipblaslt_init_deviceIS0_Ev8ABC_dims24hipblaslt_initializationbPT_mmmmmEUlmE6_EvS5_mmT0_,"axG",@progbits,_Z11fill_kernelI13hipblaslt_bf8Z21hipblaslt_init_deviceIS0_Ev8ABC_dims24hipblaslt_initializationbPT_mmmmmEUlmE6_EvS5_mmT0_,comdat
.Lfunc_end84:
	.size	_Z11fill_kernelI13hipblaslt_bf8Z21hipblaslt_init_deviceIS0_Ev8ABC_dims24hipblaslt_initializationbPT_mmmmmEUlmE6_EvS5_mmT0_, .Lfunc_end84-_Z11fill_kernelI13hipblaslt_bf8Z21hipblaslt_init_deviceIS0_Ev8ABC_dims24hipblaslt_initializationbPT_mmmmmEUlmE6_EvS5_mmT0_
                                        ; -- End function
	.section	.AMDGPU.csdata,"",@progbits
; Kernel info:
; codeLenInByte = 128
; NumSgprs: 16
; NumVgprs: 3
; ScratchSize: 0
; MemoryBound: 0
; FloatMode: 240
; IeeeMode: 1
; LDSByteSize: 0 bytes/workgroup (compile time only)
; SGPRBlocks: 1
; VGPRBlocks: 0
; NumSGPRsForWavesPerEU: 16
; NumVGPRsForWavesPerEU: 3
; Occupancy: 16
; WaveLimiterHint : 0
; COMPUTE_PGM_RSRC2:SCRATCH_EN: 0
; COMPUTE_PGM_RSRC2:USER_SGPR: 15
; COMPUTE_PGM_RSRC2:TRAP_HANDLER: 0
; COMPUTE_PGM_RSRC2:TGID_X_EN: 1
; COMPUTE_PGM_RSRC2:TGID_Y_EN: 0
; COMPUTE_PGM_RSRC2:TGID_Z_EN: 0
; COMPUTE_PGM_RSRC2:TIDIG_COMP_CNT: 0
	.section	.text._Z11fill_kernelI13hipblaslt_bf8Z21hipblaslt_init_deviceIS0_Ev8ABC_dims24hipblaslt_initializationbPT_mmmmmEUlmE7_EvS5_mmT0_,"axG",@progbits,_Z11fill_kernelI13hipblaslt_bf8Z21hipblaslt_init_deviceIS0_Ev8ABC_dims24hipblaslt_initializationbPT_mmmmmEUlmE7_EvS5_mmT0_,comdat
	.protected	_Z11fill_kernelI13hipblaslt_bf8Z21hipblaslt_init_deviceIS0_Ev8ABC_dims24hipblaslt_initializationbPT_mmmmmEUlmE7_EvS5_mmT0_ ; -- Begin function _Z11fill_kernelI13hipblaslt_bf8Z21hipblaslt_init_deviceIS0_Ev8ABC_dims24hipblaslt_initializationbPT_mmmmmEUlmE7_EvS5_mmT0_
	.globl	_Z11fill_kernelI13hipblaslt_bf8Z21hipblaslt_init_deviceIS0_Ev8ABC_dims24hipblaslt_initializationbPT_mmmmmEUlmE7_EvS5_mmT0_
	.p2align	8
	.type	_Z11fill_kernelI13hipblaslt_bf8Z21hipblaslt_init_deviceIS0_Ev8ABC_dims24hipblaslt_initializationbPT_mmmmmEUlmE7_EvS5_mmT0_,@function
_Z11fill_kernelI13hipblaslt_bf8Z21hipblaslt_init_deviceIS0_Ev8ABC_dims24hipblaslt_initializationbPT_mmmmmEUlmE7_EvS5_mmT0_: ; @_Z11fill_kernelI13hipblaslt_bf8Z21hipblaslt_init_deviceIS0_Ev8ABC_dims24hipblaslt_initializationbPT_mmmmmEUlmE7_EvS5_mmT0_
; %bb.0:
	s_clause 0x1
	s_load_b32 s2, s[0:1], 0x2c
	s_load_b128 s[4:7], s[0:1], 0x0
	s_waitcnt lgkmcnt(0)
	s_and_b32 s2, s2, 0xffff
	s_delay_alu instid0(SALU_CYCLE_1) | instskip(SKIP_2) | instid1(VALU_DEP_1)
	v_mad_u64_u32 v[1:2], null, s15, s2, v[0:1]
	v_mov_b32_e32 v2, 0
	s_mov_b32 s2, exec_lo
	v_cmpx_gt_u64_e64 s[6:7], v[1:2]
	s_cbranch_execz .LBB85_14
; %bb.1:
	s_load_b64 s[0:1], s[0:1], 0x10
	s_mov_b32 s2, 0x19660d
	s_waitcnt lgkmcnt(0)
	v_add_co_u32 v4, s0, v1, s0
	s_delay_alu instid0(VALU_DEP_1) | instskip(NEXT) | instid1(VALU_DEP_2)
	v_add_co_ci_u32_e64 v5, null, 0, s1, s0
	v_mad_u64_u32 v[0:1], null, v4, s2, 0x3c6ef35f
	s_delay_alu instid0(VALU_DEP_1) | instskip(NEXT) | instid1(VALU_DEP_1)
	v_mad_u64_u32 v[6:7], null, 0x19660d, v5, v[1:2]
	v_mov_b32_e32 v1, v6
	s_delay_alu instid0(VALU_DEP_1) | instskip(NEXT) | instid1(VALU_DEP_1)
	v_lshlrev_b64 v[6:7], 13, v[0:1]
	v_xor_b32_e32 v1, v7, v1
	s_delay_alu instid0(VALU_DEP_2) | instskip(NEXT) | instid1(VALU_DEP_1)
	v_xor_b32_e32 v0, v6, v0
	v_lshrrev_b64 v[6:7], 17, v[0:1]
	s_delay_alu instid0(VALU_DEP_1) | instskip(NEXT) | instid1(VALU_DEP_2)
	v_xor_b32_e32 v1, v7, v1
	v_xor_b32_e32 v0, v6, v0
	s_delay_alu instid0(VALU_DEP_1) | instskip(NEXT) | instid1(VALU_DEP_1)
	v_lshlrev_b64 v[6:7], 5, v[0:1]
	v_xor_b32_e32 v1, v7, v1
	s_delay_alu instid0(VALU_DEP_2) | instskip(NEXT) | instid1(VALU_DEP_1)
	v_xor_b32_e32 v0, v6, v0
	v_lshlrev_b64 v[6:7], 13, v[0:1]
	s_delay_alu instid0(VALU_DEP_1) | instskip(NEXT) | instid1(VALU_DEP_2)
	v_xor_b32_e32 v1, v7, v1
	v_xor_b32_e32 v0, v6, v0
	s_delay_alu instid0(VALU_DEP_1) | instskip(NEXT) | instid1(VALU_DEP_1)
	v_lshrrev_b64 v[6:7], 17, v[0:1]
	v_xor_b32_e32 v1, v7, v1
	s_delay_alu instid0(VALU_DEP_2) | instskip(NEXT) | instid1(VALU_DEP_1)
	v_xor_b32_e32 v0, v6, v0
	v_lshlrev_b64 v[6:7], 5, v[0:1]
	s_delay_alu instid0(VALU_DEP_1) | instskip(NEXT) | instid1(VALU_DEP_2)
	v_xor_b32_e32 v1, v7, v1
	v_xor_b32_e32 v0, v6, v0
	s_delay_alu instid0(VALU_DEP_1) | instskip(NEXT) | instid1(VALU_DEP_1)
	v_lshlrev_b64 v[6:7], 13, v[0:1]
	v_xor_b32_e32 v1, v7, v1
	s_delay_alu instid0(VALU_DEP_2) | instskip(NEXT) | instid1(VALU_DEP_1)
	v_xor_b32_e32 v0, v6, v0
	v_alignbit_b32 v1, v1, v0, 17
	s_delay_alu instid0(VALU_DEP_1) | instskip(NEXT) | instid1(VALU_DEP_1)
	v_xor_b32_e32 v0, v1, v0
	v_lshlrev_b32_e32 v1, 5, v0
	s_delay_alu instid0(VALU_DEP_1) | instskip(NEXT) | instid1(VALU_DEP_1)
	v_xor_b32_e32 v0, v1, v0
	v_mul_hi_u32 v1, 0xcccccccd, v0
	s_delay_alu instid0(VALU_DEP_1) | instskip(NEXT) | instid1(VALU_DEP_1)
	v_lshrrev_b32_e32 v1, 3, v1
	v_mul_lo_u32 v1, v1, 10
	s_delay_alu instid0(VALU_DEP_1) | instskip(NEXT) | instid1(VALU_DEP_1)
	v_sub_nc_u32_e32 v0, v0, v1
	v_add_nc_u32_e32 v0, 1, v0
	s_delay_alu instid0(VALU_DEP_1) | instskip(NEXT) | instid1(VALU_DEP_1)
	v_cvt_f32_u32_e32 v0, v0
	v_and_b32_e32 v3, 0x7f800000, v0
	v_and_b32_e32 v1, 0x7fffff, v0
	s_delay_alu instid0(VALU_DEP_2) | instskip(SKIP_1) | instid1(SALU_CYCLE_1)
	v_cmp_ne_u32_e32 vcc_lo, 0x7f800000, v3
                                        ; implicit-def: $vgpr3
	s_and_saveexec_b32 s0, vcc_lo
	s_xor_b32 s2, exec_lo, s0
	s_cbranch_execz .LBB85_11
; %bb.2:
	v_mov_b32_e32 v3, 0x7b
	s_mov_b32 s3, exec_lo
	v_cmpx_gt_u32_e32 0x47600001, v0
	s_cbranch_execz .LBB85_10
; %bb.3:
	v_lshrrev_b32_e32 v12, 23, v0
	v_cmp_gt_u32_e32 vcc_lo, 0x800000, v0
	s_delay_alu instid0(VALU_DEP_2) | instskip(NEXT) | instid1(VALU_DEP_1)
	v_sub_nc_u32_e64 v3, 0x71, v12 clamp
	v_cndmask_b32_e64 v0, v3, 0x70, vcc_lo
	v_or_b32_e32 v3, 0x800000, v1
	s_delay_alu instid0(VALU_DEP_1) | instskip(SKIP_1) | instid1(VALU_DEP_2)
	v_dual_cndmask_b32 v1, v3, v1 :: v_dual_add_nc_u32 v6, 21, v0
	v_dual_mov_b32 v3, 0 :: v_dual_add_nc_u32 v10, 20, v0
	v_lshlrev_b64 v[6:7], v6, -1
	s_delay_alu instid0(VALU_DEP_3) | instskip(NEXT) | instid1(VALU_DEP_2)
	v_lshrrev_b64 v[8:9], v0, v[1:2]
	v_not_b32_e32 v11, v7
	s_delay_alu instid0(VALU_DEP_3) | instskip(SKIP_1) | instid1(VALU_DEP_4)
	v_not_b32_e32 v13, v6
	v_lshlrev_b64 v[6:7], v10, 1
	v_and_b32_e32 v2, 0x200000, v8
	s_delay_alu instid0(VALU_DEP_4) | instskip(NEXT) | instid1(VALU_DEP_4)
	v_and_b32_e32 v11, 0, v11
	v_and_b32_e32 v10, v1, v13
	v_add_nc_u32_e32 v1, 0xffffff90, v12
	s_delay_alu instid0(VALU_DEP_4) | instskip(SKIP_1) | instid1(VALU_DEP_4)
	v_cmp_eq_u64_e64 s0, 0, v[2:3]
	v_lshrrev_b32_e32 v2, 23, v8
	v_cmp_eq_u64_e64 s1, v[10:11], v[6:7]
	s_delay_alu instid0(VALU_DEP_4) | instskip(NEXT) | instid1(VALU_DEP_1)
	v_cndmask_b32_e64 v1, v1, 0xffffff91, vcc_lo
	v_add3_u32 v6, v1, v0, v2
	s_delay_alu instid0(VALU_DEP_3) | instskip(SKIP_2) | instid1(VALU_DEP_1)
	s_and_b32 vcc_lo, s0, s1
	s_mov_b32 s0, exec_lo
	v_subrev_co_ci_u32_e32 v7, vcc_lo, 0, v8, vcc_lo
                                        ; implicit-def: $vgpr2
	v_and_b32_e32 v0, 0x1fffff, v7
	v_add_nc_u32_e32 v7, -1, v6
	s_delay_alu instid0(VALU_DEP_2) | instskip(SKIP_1) | instid1(VALU_DEP_3)
	v_add_co_u32 v0, vcc_lo, v0, v8
	v_add_co_ci_u32_e32 v1, vcc_lo, 0, v9, vcc_lo
	v_cmpx_ne_u32_e32 0, v7
	s_xor_b32 s0, exec_lo, s0
; %bb.4:
	s_delay_alu instid0(VALU_DEP_3) | instskip(SKIP_1) | instid1(VALU_DEP_2)
	v_and_b32_e32 v2, 0x1000000, v0
	v_bfe_u32 v8, v0, 24, 1
	v_cmp_eq_u64_e32 vcc_lo, 0, v[2:3]
	s_delay_alu instid0(VALU_DEP_2)
	v_lshrrev_b64 v[0:1], v8, v[0:1]
	v_cndmask_b32_e32 v2, v6, v7, vcc_lo
; %bb.5:
	s_and_not1_saveexec_b32 s0, s0
; %bb.6:
	s_delay_alu instid0(VALU_DEP_2)
	v_bfe_u32 v2, v0, 23, 1
; %bb.7:
	s_or_b32 exec_lo, exec_lo, s0
	s_delay_alu instid0(VALU_DEP_3) | instskip(NEXT) | instid1(VALU_DEP_2)
	v_lshrrev_b64 v[0:1], 21, v[0:1]
	v_cmp_gt_i32_e32 vcc_lo, 32, v2
	v_cmp_ne_u32_e64 s0, 0, v2
	v_mov_b32_e32 v3, 0
	s_delay_alu instid0(VALU_DEP_4) | instskip(NEXT) | instid1(VALU_DEP_1)
	v_dual_cndmask_b32 v1, 0, v1 :: v_dual_cndmask_b32 v0, 3, v0
	v_cmp_ne_u64_e32 vcc_lo, 0, v[0:1]
	s_delay_alu instid0(VALU_DEP_4) | instskip(NEXT) | instid1(SALU_CYCLE_1)
	s_or_b32 s1, s0, vcc_lo
	s_and_saveexec_b32 s0, s1
; %bb.8:
	v_min_i32_e32 v1, 31, v2
	s_delay_alu instid0(VALU_DEP_1) | instskip(NEXT) | instid1(VALU_DEP_1)
	v_lshlrev_b32_e32 v1, 2, v1
	v_and_or_b32 v3, v0, 3, v1
; %bb.9:
	s_or_b32 exec_lo, exec_lo, s0
.LBB85_10:
	s_delay_alu instid0(SALU_CYCLE_1)
	s_or_b32 exec_lo, exec_lo, s3
                                        ; implicit-def: $vgpr1_vgpr2
.LBB85_11:
	s_and_not1_saveexec_b32 s0, s2
; %bb.12:
	v_cmp_eq_u64_e32 vcc_lo, 0, v[1:2]
	v_mov_b32_e32 v0, 0x7b
	s_delay_alu instid0(VALU_DEP_1)
	v_cndmask_b32_e32 v3, 0x7f, v0, vcc_lo
; %bb.13:
	s_or_b32 exec_lo, exec_lo, s0
	v_add_co_u32 v0, vcc_lo, s4, v4
	v_add_co_ci_u32_e32 v1, vcc_lo, s5, v5, vcc_lo
	global_store_b8 v[0:1], v3, off
.LBB85_14:
	s_nop 0
	s_sendmsg sendmsg(MSG_DEALLOC_VGPRS)
	s_endpgm
	.section	.rodata,"a",@progbits
	.p2align	6, 0x0
	.amdhsa_kernel _Z11fill_kernelI13hipblaslt_bf8Z21hipblaslt_init_deviceIS0_Ev8ABC_dims24hipblaslt_initializationbPT_mmmmmEUlmE7_EvS5_mmT0_
		.amdhsa_group_segment_fixed_size 0
		.amdhsa_private_segment_fixed_size 0
		.amdhsa_kernarg_size 288
		.amdhsa_user_sgpr_count 15
		.amdhsa_user_sgpr_dispatch_ptr 0
		.amdhsa_user_sgpr_queue_ptr 0
		.amdhsa_user_sgpr_kernarg_segment_ptr 1
		.amdhsa_user_sgpr_dispatch_id 0
		.amdhsa_user_sgpr_private_segment_size 0
		.amdhsa_wavefront_size32 1
		.amdhsa_uses_dynamic_stack 0
		.amdhsa_enable_private_segment 0
		.amdhsa_system_sgpr_workgroup_id_x 1
		.amdhsa_system_sgpr_workgroup_id_y 0
		.amdhsa_system_sgpr_workgroup_id_z 0
		.amdhsa_system_sgpr_workgroup_info 0
		.amdhsa_system_vgpr_workitem_id 0
		.amdhsa_next_free_vgpr 14
		.amdhsa_next_free_sgpr 16
		.amdhsa_reserve_vcc 1
		.amdhsa_float_round_mode_32 0
		.amdhsa_float_round_mode_16_64 0
		.amdhsa_float_denorm_mode_32 3
		.amdhsa_float_denorm_mode_16_64 3
		.amdhsa_dx10_clamp 1
		.amdhsa_ieee_mode 1
		.amdhsa_fp16_overflow 0
		.amdhsa_workgroup_processor_mode 1
		.amdhsa_memory_ordered 1
		.amdhsa_forward_progress 0
		.amdhsa_shared_vgpr_count 0
		.amdhsa_exception_fp_ieee_invalid_op 0
		.amdhsa_exception_fp_denorm_src 0
		.amdhsa_exception_fp_ieee_div_zero 0
		.amdhsa_exception_fp_ieee_overflow 0
		.amdhsa_exception_fp_ieee_underflow 0
		.amdhsa_exception_fp_ieee_inexact 0
		.amdhsa_exception_int_div_zero 0
	.end_amdhsa_kernel
	.section	.text._Z11fill_kernelI13hipblaslt_bf8Z21hipblaslt_init_deviceIS0_Ev8ABC_dims24hipblaslt_initializationbPT_mmmmmEUlmE7_EvS5_mmT0_,"axG",@progbits,_Z11fill_kernelI13hipblaslt_bf8Z21hipblaslt_init_deviceIS0_Ev8ABC_dims24hipblaslt_initializationbPT_mmmmmEUlmE7_EvS5_mmT0_,comdat
.Lfunc_end85:
	.size	_Z11fill_kernelI13hipblaslt_bf8Z21hipblaslt_init_deviceIS0_Ev8ABC_dims24hipblaslt_initializationbPT_mmmmmEUlmE7_EvS5_mmT0_, .Lfunc_end85-_Z11fill_kernelI13hipblaslt_bf8Z21hipblaslt_init_deviceIS0_Ev8ABC_dims24hipblaslt_initializationbPT_mmmmmEUlmE7_EvS5_mmT0_
                                        ; -- End function
	.section	.AMDGPU.csdata,"",@progbits
; Kernel info:
; codeLenInByte = 880
; NumSgprs: 18
; NumVgprs: 14
; ScratchSize: 0
; MemoryBound: 0
; FloatMode: 240
; IeeeMode: 1
; LDSByteSize: 0 bytes/workgroup (compile time only)
; SGPRBlocks: 2
; VGPRBlocks: 1
; NumSGPRsForWavesPerEU: 18
; NumVGPRsForWavesPerEU: 14
; Occupancy: 16
; WaveLimiterHint : 0
; COMPUTE_PGM_RSRC2:SCRATCH_EN: 0
; COMPUTE_PGM_RSRC2:USER_SGPR: 15
; COMPUTE_PGM_RSRC2:TRAP_HANDLER: 0
; COMPUTE_PGM_RSRC2:TGID_X_EN: 1
; COMPUTE_PGM_RSRC2:TGID_Y_EN: 0
; COMPUTE_PGM_RSRC2:TGID_Z_EN: 0
; COMPUTE_PGM_RSRC2:TIDIG_COMP_CNT: 0
	.section	.text._Z11fill_kernelI13hipblaslt_bf8Z21hipblaslt_init_deviceIS0_Ev8ABC_dims24hipblaslt_initializationbPT_mmmmmEUlmE8_EvS5_mmT0_,"axG",@progbits,_Z11fill_kernelI13hipblaslt_bf8Z21hipblaslt_init_deviceIS0_Ev8ABC_dims24hipblaslt_initializationbPT_mmmmmEUlmE8_EvS5_mmT0_,comdat
	.protected	_Z11fill_kernelI13hipblaslt_bf8Z21hipblaslt_init_deviceIS0_Ev8ABC_dims24hipblaslt_initializationbPT_mmmmmEUlmE8_EvS5_mmT0_ ; -- Begin function _Z11fill_kernelI13hipblaslt_bf8Z21hipblaslt_init_deviceIS0_Ev8ABC_dims24hipblaslt_initializationbPT_mmmmmEUlmE8_EvS5_mmT0_
	.globl	_Z11fill_kernelI13hipblaslt_bf8Z21hipblaslt_init_deviceIS0_Ev8ABC_dims24hipblaslt_initializationbPT_mmmmmEUlmE8_EvS5_mmT0_
	.p2align	8
	.type	_Z11fill_kernelI13hipblaslt_bf8Z21hipblaslt_init_deviceIS0_Ev8ABC_dims24hipblaslt_initializationbPT_mmmmmEUlmE8_EvS5_mmT0_,@function
_Z11fill_kernelI13hipblaslt_bf8Z21hipblaslt_init_deviceIS0_Ev8ABC_dims24hipblaslt_initializationbPT_mmmmmEUlmE8_EvS5_mmT0_: ; @_Z11fill_kernelI13hipblaslt_bf8Z21hipblaslt_init_deviceIS0_Ev8ABC_dims24hipblaslt_initializationbPT_mmmmmEUlmE8_EvS5_mmT0_
; %bb.0:
	s_clause 0x1
	s_load_b32 s2, s[0:1], 0x2c
	s_load_b128 s[4:7], s[0:1], 0x0
	s_waitcnt lgkmcnt(0)
	s_and_b32 s2, s2, 0xffff
	s_delay_alu instid0(SALU_CYCLE_1) | instskip(SKIP_2) | instid1(VALU_DEP_1)
	v_mad_u64_u32 v[1:2], null, s15, s2, v[0:1]
	v_mov_b32_e32 v2, 0
	s_mov_b32 s2, exec_lo
	v_cmpx_gt_u64_e64 s[6:7], v[1:2]
	s_cbranch_execz .LBB86_2
; %bb.1:
	s_load_b64 s[0:1], s[0:1], 0x10
	s_waitcnt lgkmcnt(0)
	s_add_u32 s0, s0, s4
	s_addc_u32 s1, s1, s5
	v_add_co_u32 v0, s0, s0, v1
	s_delay_alu instid0(VALU_DEP_1)
	v_add_co_ci_u32_e64 v1, null, s1, 0, s0
	global_store_b8 v[0:1], v2, off
.LBB86_2:
	s_nop 0
	s_sendmsg sendmsg(MSG_DEALLOC_VGPRS)
	s_endpgm
	.section	.rodata,"a",@progbits
	.p2align	6, 0x0
	.amdhsa_kernel _Z11fill_kernelI13hipblaslt_bf8Z21hipblaslt_init_deviceIS0_Ev8ABC_dims24hipblaslt_initializationbPT_mmmmmEUlmE8_EvS5_mmT0_
		.amdhsa_group_segment_fixed_size 0
		.amdhsa_private_segment_fixed_size 0
		.amdhsa_kernarg_size 288
		.amdhsa_user_sgpr_count 15
		.amdhsa_user_sgpr_dispatch_ptr 0
		.amdhsa_user_sgpr_queue_ptr 0
		.amdhsa_user_sgpr_kernarg_segment_ptr 1
		.amdhsa_user_sgpr_dispatch_id 0
		.amdhsa_user_sgpr_private_segment_size 0
		.amdhsa_wavefront_size32 1
		.amdhsa_uses_dynamic_stack 0
		.amdhsa_enable_private_segment 0
		.amdhsa_system_sgpr_workgroup_id_x 1
		.amdhsa_system_sgpr_workgroup_id_y 0
		.amdhsa_system_sgpr_workgroup_id_z 0
		.amdhsa_system_sgpr_workgroup_info 0
		.amdhsa_system_vgpr_workitem_id 0
		.amdhsa_next_free_vgpr 3
		.amdhsa_next_free_sgpr 16
		.amdhsa_reserve_vcc 0
		.amdhsa_float_round_mode_32 0
		.amdhsa_float_round_mode_16_64 0
		.amdhsa_float_denorm_mode_32 3
		.amdhsa_float_denorm_mode_16_64 3
		.amdhsa_dx10_clamp 1
		.amdhsa_ieee_mode 1
		.amdhsa_fp16_overflow 0
		.amdhsa_workgroup_processor_mode 1
		.amdhsa_memory_ordered 1
		.amdhsa_forward_progress 0
		.amdhsa_shared_vgpr_count 0
		.amdhsa_exception_fp_ieee_invalid_op 0
		.amdhsa_exception_fp_denorm_src 0
		.amdhsa_exception_fp_ieee_div_zero 0
		.amdhsa_exception_fp_ieee_overflow 0
		.amdhsa_exception_fp_ieee_underflow 0
		.amdhsa_exception_fp_ieee_inexact 0
		.amdhsa_exception_int_div_zero 0
	.end_amdhsa_kernel
	.section	.text._Z11fill_kernelI13hipblaslt_bf8Z21hipblaslt_init_deviceIS0_Ev8ABC_dims24hipblaslt_initializationbPT_mmmmmEUlmE8_EvS5_mmT0_,"axG",@progbits,_Z11fill_kernelI13hipblaslt_bf8Z21hipblaslt_init_deviceIS0_Ev8ABC_dims24hipblaslt_initializationbPT_mmmmmEUlmE8_EvS5_mmT0_,comdat
.Lfunc_end86:
	.size	_Z11fill_kernelI13hipblaslt_bf8Z21hipblaslt_init_deviceIS0_Ev8ABC_dims24hipblaslt_initializationbPT_mmmmmEUlmE8_EvS5_mmT0_, .Lfunc_end86-_Z11fill_kernelI13hipblaslt_bf8Z21hipblaslt_init_deviceIS0_Ev8ABC_dims24hipblaslt_initializationbPT_mmmmmEUlmE8_EvS5_mmT0_
                                        ; -- End function
	.section	.AMDGPU.csdata,"",@progbits
; Kernel info:
; codeLenInByte = 124
; NumSgprs: 16
; NumVgprs: 3
; ScratchSize: 0
; MemoryBound: 0
; FloatMode: 240
; IeeeMode: 1
; LDSByteSize: 0 bytes/workgroup (compile time only)
; SGPRBlocks: 1
; VGPRBlocks: 0
; NumSGPRsForWavesPerEU: 16
; NumVGPRsForWavesPerEU: 3
; Occupancy: 16
; WaveLimiterHint : 0
; COMPUTE_PGM_RSRC2:SCRATCH_EN: 0
; COMPUTE_PGM_RSRC2:USER_SGPR: 15
; COMPUTE_PGM_RSRC2:TRAP_HANDLER: 0
; COMPUTE_PGM_RSRC2:TGID_X_EN: 1
; COMPUTE_PGM_RSRC2:TGID_Y_EN: 0
; COMPUTE_PGM_RSRC2:TGID_Z_EN: 0
; COMPUTE_PGM_RSRC2:TIDIG_COMP_CNT: 0
	.section	.text._Z11fill_kernelI13hipblaslt_bf8Z21hipblaslt_init_deviceIS0_Ev8ABC_dims24hipblaslt_initializationbPT_mmmmmEUlmE9_EvS5_mmT0_,"axG",@progbits,_Z11fill_kernelI13hipblaslt_bf8Z21hipblaslt_init_deviceIS0_Ev8ABC_dims24hipblaslt_initializationbPT_mmmmmEUlmE9_EvS5_mmT0_,comdat
	.protected	_Z11fill_kernelI13hipblaslt_bf8Z21hipblaslt_init_deviceIS0_Ev8ABC_dims24hipblaslt_initializationbPT_mmmmmEUlmE9_EvS5_mmT0_ ; -- Begin function _Z11fill_kernelI13hipblaslt_bf8Z21hipblaslt_init_deviceIS0_Ev8ABC_dims24hipblaslt_initializationbPT_mmmmmEUlmE9_EvS5_mmT0_
	.globl	_Z11fill_kernelI13hipblaslt_bf8Z21hipblaslt_init_deviceIS0_Ev8ABC_dims24hipblaslt_initializationbPT_mmmmmEUlmE9_EvS5_mmT0_
	.p2align	8
	.type	_Z11fill_kernelI13hipblaslt_bf8Z21hipblaslt_init_deviceIS0_Ev8ABC_dims24hipblaslt_initializationbPT_mmmmmEUlmE9_EvS5_mmT0_,@function
_Z11fill_kernelI13hipblaslt_bf8Z21hipblaslt_init_deviceIS0_Ev8ABC_dims24hipblaslt_initializationbPT_mmmmmEUlmE9_EvS5_mmT0_: ; @_Z11fill_kernelI13hipblaslt_bf8Z21hipblaslt_init_deviceIS0_Ev8ABC_dims24hipblaslt_initializationbPT_mmmmmEUlmE9_EvS5_mmT0_
; %bb.0:
	s_clause 0x1
	s_load_b32 s2, s[0:1], 0x2c
	s_load_b128 s[4:7], s[0:1], 0x0
	s_waitcnt lgkmcnt(0)
	s_and_b32 s2, s2, 0xffff
	s_delay_alu instid0(SALU_CYCLE_1) | instskip(SKIP_2) | instid1(VALU_DEP_1)
	v_mad_u64_u32 v[1:2], null, s15, s2, v[0:1]
	v_mov_b32_e32 v2, 0
	s_mov_b32 s2, exec_lo
	v_cmpx_gt_u64_e64 s[6:7], v[1:2]
	s_cbranch_execz .LBB87_22
; %bb.1:
	s_clause 0x1
	s_load_b64 s[2:3], s[0:1], 0x10
	s_load_b32 s0, s[0:1], 0x18
	s_waitcnt lgkmcnt(0)
	v_add_co_u32 v4, s1, v1, s2
	s_delay_alu instid0(VALU_DEP_1) | instskip(NEXT) | instid1(VALU_DEP_2)
	v_add_co_ci_u32_e64 v5, null, 0, s3, s1
	v_add_nc_u32_e32 v6, s0, v4
	s_mov_b32 s0, 0xb90ffb1d
	s_delay_alu instid0(VALU_DEP_1) | instid1(SALU_CYCLE_1)
	v_mad_u64_u32 v[0:1], null, v6, s0, 0xdc6d3ef
	v_mad_u64_u32 v[1:2], null, 0x10dcd, v6, 1
	s_mov_b32 s0, 0x6ab9d291
	s_delay_alu instid0(VALU_DEP_2) | instskip(NEXT) | instid1(VALU_DEP_2)
	v_lshrrev_b32_e32 v3, 2, v0
	v_lshlrev_b32_e32 v7, 4, v1
	s_delay_alu instid0(VALU_DEP_2) | instskip(SKIP_2) | instid1(VALU_DEP_2)
	v_xor_b32_e32 v0, v3, v0
	v_mad_u64_u32 v[2:3], null, v6, s0, 0xffffffffdfb3c992
	s_mov_b32 s0, exec_lo
	v_lshlrev_b32_e32 v3, 1, v0
	s_delay_alu instid0(VALU_DEP_2) | instskip(NEXT) | instid1(VALU_DEP_2)
	v_lshrrev_b32_e32 v8, 2, v2
	v_xor_b32_e32 v3, v7, v3
	s_delay_alu instid0(VALU_DEP_2) | instskip(NEXT) | instid1(VALU_DEP_2)
	v_xor_b32_e32 v7, v8, v2
	v_xor3_b32 v1, v3, v1, v0
                                        ; implicit-def: $vgpr3
	s_delay_alu instid0(VALU_DEP_2) | instskip(NEXT) | instid1(VALU_DEP_2)
	v_lshlrev_b32_e32 v0, 1, v7
	v_lshlrev_b32_e32 v2, 4, v1
	s_delay_alu instid0(VALU_DEP_1) | instskip(SKIP_1) | instid1(VALU_DEP_2)
	v_xor_b32_e32 v0, v0, v2
	v_xor_b32_e32 v2, 0x587c5, v6
                                        ; implicit-def: $vgpr6
	v_xor3_b32 v0, v0, v7, v1
	s_delay_alu instid0(VALU_DEP_1) | instskip(NEXT) | instid1(VALU_DEP_1)
	v_add3_u32 v0, v2, v0, 0xb0f8a
	v_cvt_f32_u32_e32 v0, v0
	s_delay_alu instid0(VALU_DEP_1) | instskip(NEXT) | instid1(VALU_DEP_1)
	v_mul_f32_e32 v0, 0x2f800000, v0
	v_mul_f32_e32 v0, 0x40c90fdb, v0
	s_delay_alu instid0(VALU_DEP_1)
	v_cmpx_ngt_f32_e32 0x48000000, v0
	s_xor_b32 s3, exec_lo, s0
	s_cbranch_execz .LBB87_3
; %bb.2:
	s_mov_b32 s0, 0x7fffff
	v_mov_b32_e32 v8, 0
	v_and_or_b32 v3, v0, s0, 0x800000
	v_lshrrev_b32_e32 v13, 23, v0
	s_delay_alu instid0(VALU_DEP_2) | instskip(NEXT) | instid1(VALU_DEP_2)
	v_mad_u64_u32 v[6:7], null, 0xfe5163ab, v3, 0
	v_add_nc_u32_e32 v14, 0xffffff88, v13
	s_delay_alu instid0(VALU_DEP_1) | instskip(NEXT) | instid1(VALU_DEP_3)
	v_cmp_lt_u32_e32 vcc_lo, 63, v14
	v_mad_u64_u32 v[9:10], null, 0x3c439041, v3, v[7:8]
	v_cndmask_b32_e64 v15, 0, 0xffffffc0, vcc_lo
	s_delay_alu instid0(VALU_DEP_2) | instskip(NEXT) | instid1(VALU_DEP_2)
	v_mov_b32_e32 v7, v10
	v_add_nc_u32_e32 v15, v15, v14
	s_delay_alu instid0(VALU_DEP_2) | instskip(NEXT) | instid1(VALU_DEP_2)
	v_mad_u64_u32 v[10:11], null, 0xdb629599, v3, v[7:8]
	v_cmp_lt_u32_e64 s0, 31, v15
	s_delay_alu instid0(VALU_DEP_1) | instskip(NEXT) | instid1(VALU_DEP_3)
	v_cndmask_b32_e64 v16, 0, 0xffffffe0, s0
	v_dual_mov_b32 v7, v11 :: v_dual_cndmask_b32 v6, v10, v6
	s_delay_alu instid0(VALU_DEP_2) | instskip(NEXT) | instid1(VALU_DEP_2)
	v_add_nc_u32_e32 v16, v16, v15
	v_mad_u64_u32 v[11:12], null, 0xf534ddc0, v3, v[7:8]
	s_delay_alu instid0(VALU_DEP_2) | instskip(NEXT) | instid1(VALU_DEP_2)
	v_cmp_lt_u32_e64 s1, 31, v16
	v_mov_b32_e32 v7, v12
	s_delay_alu instid0(VALU_DEP_3) | instskip(NEXT) | instid1(VALU_DEP_2)
	v_cndmask_b32_e32 v9, v11, v9, vcc_lo
	v_mad_u64_u32 v[12:13], null, 0xfc2757d1, v3, v[7:8]
	s_delay_alu instid0(VALU_DEP_2) | instskip(NEXT) | instid1(VALU_DEP_2)
	v_cndmask_b32_e64 v6, v9, v6, s0
	v_mov_b32_e32 v7, v13
	s_delay_alu instid0(VALU_DEP_1) | instskip(NEXT) | instid1(VALU_DEP_1)
	v_mad_u64_u32 v[13:14], null, 0x4e441529, v3, v[7:8]
	v_mov_b32_e32 v7, v14
	s_delay_alu instid0(VALU_DEP_1) | instskip(SKIP_1) | instid1(VALU_DEP_4)
	v_mad_u64_u32 v[14:15], null, 0xa2f9836e, v3, v[7:8]
	v_cndmask_b32_e64 v3, 0, 0xffffffe0, s1
	v_cndmask_b32_e32 v7, v13, v11, vcc_lo
	s_delay_alu instid0(VALU_DEP_2) | instskip(NEXT) | instid1(VALU_DEP_4)
	v_add_nc_u32_e32 v3, v3, v16
	v_dual_cndmask_b32 v8, v14, v12 :: v_dual_cndmask_b32 v13, v15, v13
	v_cndmask_b32_e32 v12, v12, v10, vcc_lo
	s_delay_alu instid0(VALU_DEP_3) | instskip(NEXT) | instid1(VALU_DEP_3)
	v_cmp_eq_u32_e64 s2, 0, v3
	v_cndmask_b32_e64 v11, v8, v7, s0
	s_delay_alu instid0(VALU_DEP_4) | instskip(NEXT) | instid1(VALU_DEP_4)
	v_cndmask_b32_e64 v8, v13, v8, s0
	v_cndmask_b32_e64 v7, v7, v12, s0
	v_sub_nc_u32_e32 v13, 32, v3
	v_cndmask_b32_e64 v12, v12, v9, s0
	s_delay_alu instid0(VALU_DEP_4) | instskip(NEXT) | instid1(VALU_DEP_4)
	v_cndmask_b32_e64 v8, v8, v11, s1
	v_cndmask_b32_e64 v11, v11, v7, s1
	s_delay_alu instid0(VALU_DEP_3) | instskip(SKIP_1) | instid1(VALU_DEP_3)
	v_cndmask_b32_e64 v7, v7, v12, s1
	v_cndmask_b32_e64 v6, v12, v6, s1
	v_alignbit_b32 v14, v8, v11, v13
	s_delay_alu instid0(VALU_DEP_3) | instskip(NEXT) | instid1(VALU_DEP_3)
	v_alignbit_b32 v15, v11, v7, v13
	v_alignbit_b32 v13, v7, v6, v13
	s_delay_alu instid0(VALU_DEP_3) | instskip(NEXT) | instid1(VALU_DEP_3)
	v_cndmask_b32_e64 v3, v14, v8, s2
	v_cndmask_b32_e64 v8, v15, v11, s2
	s_delay_alu instid0(VALU_DEP_3) | instskip(NEXT) | instid1(VALU_DEP_3)
	v_cndmask_b32_e64 v7, v13, v7, s2
	v_bfe_u32 v10, v3, 29, 1
	s_delay_alu instid0(VALU_DEP_3) | instskip(NEXT) | instid1(VALU_DEP_3)
	v_alignbit_b32 v9, v3, v8, 30
	v_alignbit_b32 v8, v8, v7, 30
	;; [unrolled: 1-line block ×3, first 2 shown]
	s_delay_alu instid0(VALU_DEP_4) | instskip(NEXT) | instid1(VALU_DEP_1)
	v_sub_nc_u32_e32 v11, 0, v10
	v_xor_b32_e32 v12, v9, v11
	v_cmp_ne_u32_e32 vcc_lo, v9, v11
	v_xor_b32_e32 v7, v8, v11
	v_xor_b32_e32 v6, v6, v11
	s_delay_alu instid0(VALU_DEP_4) | instskip(NEXT) | instid1(VALU_DEP_1)
	v_clz_i32_u32_e32 v14, v12
	v_add_nc_u32_e32 v13, 1, v14
	s_delay_alu instid0(VALU_DEP_1) | instskip(NEXT) | instid1(VALU_DEP_1)
	v_cndmask_b32_e32 v9, 33, v13, vcc_lo
	v_sub_nc_u32_e32 v8, 32, v9
	s_delay_alu instid0(VALU_DEP_1) | instskip(SKIP_2) | instid1(VALU_DEP_2)
	v_alignbit_b32 v11, v12, v7, v8
	v_alignbit_b32 v6, v7, v6, v8
	v_lshrrev_b32_e32 v7, 29, v3
	v_alignbit_b32 v8, v11, v6, 9
	s_delay_alu instid0(VALU_DEP_2) | instskip(SKIP_1) | instid1(VALU_DEP_3)
	v_lshlrev_b32_e32 v7, 31, v7
	v_alignbit_b32 v11, v9, v11, 9
	v_clz_i32_u32_e32 v12, v8
	s_delay_alu instid0(VALU_DEP_2) | instskip(SKIP_1) | instid1(VALU_DEP_3)
	v_or_b32_e32 v11, v11, v7
	v_or_b32_e32 v7, 0x33800000, v7
	v_min_u32_e32 v12, 32, v12
	s_delay_alu instid0(VALU_DEP_3) | instskip(NEXT) | instid1(VALU_DEP_2)
	v_xor_b32_e32 v11, 1.0, v11
	v_sub_nc_u32_e32 v13, 31, v12
	v_add_lshl_u32 v9, v12, v9, 23
	s_delay_alu instid0(VALU_DEP_3) | instskip(NEXT) | instid1(VALU_DEP_3)
	v_mul_f32_e32 v12, 0x3fc90fda, v11
	v_alignbit_b32 v6, v8, v6, v13
	s_delay_alu instid0(VALU_DEP_3) | instskip(NEXT) | instid1(VALU_DEP_3)
	v_sub_nc_u32_e32 v7, v7, v9
	v_fma_f32 v8, 0x3fc90fda, v11, -v12
	s_delay_alu instid0(VALU_DEP_3) | instskip(NEXT) | instid1(VALU_DEP_2)
	v_lshrrev_b32_e32 v6, 9, v6
	v_fmamk_f32 v8, v11, 0x33a22168, v8
	s_delay_alu instid0(VALU_DEP_2) | instskip(NEXT) | instid1(VALU_DEP_1)
	v_or_b32_e32 v6, v7, v6
	v_fmac_f32_e32 v8, 0x3fc90fda, v6
	v_lshrrev_b32_e32 v6, 30, v3
	s_delay_alu instid0(VALU_DEP_1)
	v_dual_add_f32 v3, v12, v8 :: v_dual_add_nc_u32 v6, v10, v6
.LBB87_3:
	s_and_not1_saveexec_b32 s0, s3
; %bb.4:
	v_mul_f32_e32 v3, 0x3f22f983, v0
	s_delay_alu instid0(VALU_DEP_1) | instskip(NEXT) | instid1(VALU_DEP_1)
	v_rndne_f32_e32 v6, v3
	v_fmamk_f32 v3, v6, 0xbfc90fda, v0
	s_delay_alu instid0(VALU_DEP_1) | instskip(NEXT) | instid1(VALU_DEP_1)
	v_fmamk_f32 v3, v6, 0xb3a22168, v3
	v_fmamk_f32 v3, v6, 0xa7c234c4, v3
	v_cvt_i32_f32_e32 v6, v6
; %bb.5:
	s_or_b32 exec_lo, exec_lo, s0
	v_add3_u32 v1, v2, v1, 0x587c5
	s_mov_b32 s1, 0x37d75334
	s_delay_alu instid0(VALU_DEP_2) | instskip(SKIP_3) | instid1(VALU_DEP_2)
	v_and_b32_e32 v13, 1, v6
	s_mov_b32 s0, 0xb94c1982
	v_lshlrev_b32_e32 v6, 30, v6
	v_cvt_f32_u32_e32 v1, v1
	v_and_b32_e32 v6, 0x80000000, v6
	s_delay_alu instid0(VALU_DEP_2) | instskip(NEXT) | instid1(VALU_DEP_1)
	v_mul_f32_e32 v1, 0x2f800000, v1
	v_cmp_ngt_f32_e32 vcc_lo, 0x2edbe6ff, v1
	v_cndmask_b32_e32 v1, 0x2edbe6ff, v1, vcc_lo
	s_delay_alu instid0(VALU_DEP_1) | instskip(SKIP_1) | instid1(VALU_DEP_1)
	v_cmp_gt_f32_e32 vcc_lo, 0x800000, v1
	v_cndmask_b32_e64 v2, 1.0, 0x4f800000, vcc_lo
	v_mul_f32_e32 v1, v1, v2
	s_delay_alu instid0(VALU_DEP_1) | instskip(SKIP_2) | instid1(VALU_DEP_1)
	v_log_f32_e32 v1, v1
	s_waitcnt_depctr 0xfff
	v_mul_f32_e32 v2, 0x3f317217, v1
	v_fma_f32 v7, 0x3f317217, v1, -v2
	s_delay_alu instid0(VALU_DEP_1) | instskip(NEXT) | instid1(VALU_DEP_1)
	v_fmamk_f32 v7, v1, 0x3377d1cf, v7
	v_add_f32_e32 v2, v2, v7
	v_cndmask_b32_e64 v7, 0, 0x41b17218, vcc_lo
	v_cmp_gt_f32_e64 vcc_lo, 0x7f800000, |v1|
	s_delay_alu instid0(VALU_DEP_3) | instskip(NEXT) | instid1(VALU_DEP_1)
	v_cndmask_b32_e32 v1, v1, v2, vcc_lo
	v_sub_f32_e32 v1, v1, v7
	v_mul_f32_e32 v7, v3, v3
	s_delay_alu instid0(VALU_DEP_1) | instskip(SKIP_1) | instid1(VALU_DEP_2)
	v_dual_fmaak_f32 v10, s1, v7, 0xbab64f3b :: v_dual_mul_f32 v1, -2.0, v1
	v_fmaak_f32 v9, s0, v7, 0x3c0881c4
	v_fmaak_f32 v10, v7, v10, 0x3d2aabf7
	s_delay_alu instid0(VALU_DEP_3) | instskip(SKIP_1) | instid1(VALU_DEP_4)
	v_mul_f32_e32 v2, 0x4f800000, v1
	v_cmp_gt_f32_e32 vcc_lo, 0xf800000, v1
	v_fmaak_f32 v9, v7, v9, 0xbe2aaa9d
	s_delay_alu instid0(VALU_DEP_3) | instskip(NEXT) | instid1(VALU_DEP_1)
	v_cndmask_b32_e32 v1, v1, v2, vcc_lo
	v_sqrt_f32_e32 v2, v1
	s_waitcnt_depctr 0xfff
	v_add_nc_u32_e32 v8, -1, v2
	v_add_nc_u32_e32 v11, 1, v2
	s_delay_alu instid0(VALU_DEP_2) | instskip(NEXT) | instid1(VALU_DEP_2)
	v_fma_f32 v12, -v8, v2, v1
	v_fma_f32 v14, -v11, v2, v1
	s_delay_alu instid0(VALU_DEP_2) | instskip(NEXT) | instid1(VALU_DEP_1)
	v_cmp_ge_f32_e64 s0, 0, v12
	v_cndmask_b32_e64 v2, v2, v8, s0
	s_delay_alu instid0(VALU_DEP_3) | instskip(SKIP_2) | instid1(VALU_DEP_3)
	v_cmp_lt_f32_e64 s0, 0, v14
	v_mul_f32_e32 v8, v7, v9
	v_fmaak_f32 v9, v7, v10, 0xbf000004
	v_cndmask_b32_e64 v2, v2, v11, s0
	s_delay_alu instid0(VALU_DEP_3) | instskip(NEXT) | instid1(VALU_DEP_3)
	v_fmac_f32_e32 v3, v3, v8
	v_fma_f32 v7, v7, v9, 1.0
	v_cmp_eq_u32_e64 s0, 0, v13
	s_delay_alu instid0(VALU_DEP_4) | instskip(NEXT) | instid1(VALU_DEP_2)
	v_mul_f32_e32 v8, 0x37800000, v2
	v_cndmask_b32_e64 v3, -v3, v7, s0
	s_mov_b32 s0, exec_lo
	s_delay_alu instid0(VALU_DEP_2) | instskip(SKIP_1) | instid1(VALU_DEP_3)
	v_cndmask_b32_e32 v2, v2, v8, vcc_lo
	v_cmp_class_f32_e64 vcc_lo, v1, 0x260
	v_xor_b32_e32 v3, v6, v3
	s_delay_alu instid0(VALU_DEP_3) | instskip(SKIP_1) | instid1(VALU_DEP_3)
	v_cndmask_b32_e32 v1, v2, v1, vcc_lo
	v_cmp_lg_f32_e32 vcc_lo, 0x7f800000, v0
	v_cndmask_b32_e32 v0, 0x7fc00000, v3, vcc_lo
	s_delay_alu instid0(VALU_DEP_1) | instskip(NEXT) | instid1(VALU_DEP_1)
	v_mul_f32_e32 v3, v1, v0
	v_lshrrev_b32_e32 v7, 24, v3
	s_delay_alu instid0(VALU_DEP_1) | instskip(SKIP_2) | instid1(VALU_DEP_3)
	v_dual_mov_b32 v1, 0 :: v_dual_and_b32 v6, 0x80, v7
	v_and_b32_e32 v8, 0x7f800000, v3
	v_and_b32_e32 v0, 0x7fffff, v3
	v_or_b32_e32 v2, 0x7b, v6
	s_delay_alu instid0(VALU_DEP_4) | instskip(NEXT) | instid1(VALU_DEP_1)
	v_mov_b32_e32 v9, v1
	v_cmpx_ne_u64_e32 0x7f800000, v[8:9]
	s_xor_b32 s2, exec_lo, s0
	s_cbranch_execz .LBB87_19
; %bb.6:
	v_dual_mov_b32 v8, v1 :: v_dual_and_b32 v7, 0x7fffffff, v3
	s_mov_b32 s0, exec_lo
	s_delay_alu instid0(VALU_DEP_1)
	v_cmpx_gt_u64_e32 0x47600001, v[7:8]
	s_xor_b32 s3, exec_lo, s0
	s_cbranch_execz .LBB87_18
; %bb.7:
	v_mov_b32_e32 v2, 0
	s_mov_b32 s6, exec_lo
	v_cmpx_ne_u32_e32 0, v3
	s_cbranch_execz .LBB87_17
; %bb.8:
	v_bfe_u32 v9, v3, 23, 8
	s_delay_alu instid0(VALU_DEP_1) | instskip(SKIP_2) | instid1(VALU_DEP_3)
	v_sub_nc_u32_e64 v2, 0x71, v9 clamp
	v_cmp_eq_u32_e32 vcc_lo, 0, v9
	v_add_nc_u32_e32 v9, 0xffffff90, v9
	v_cndmask_b32_e64 v12, v2, 0x70, vcc_lo
	v_or_b32_e32 v2, 0x800000, v0
	s_delay_alu instid0(VALU_DEP_2) | instskip(NEXT) | instid1(VALU_DEP_2)
	v_add_nc_u32_e32 v3, 21, v12
	v_cndmask_b32_e32 v0, v2, v0, vcc_lo
	v_add_nc_u32_e32 v7, 20, v12
	s_delay_alu instid0(VALU_DEP_3) | instskip(NEXT) | instid1(VALU_DEP_3)
	v_lshlrev_b64 v[2:3], v3, -1
	v_lshrrev_b64 v[10:11], v12, v[0:1]
	s_delay_alu instid0(VALU_DEP_3) | instskip(NEXT) | instid1(VALU_DEP_3)
	v_lshlrev_b64 v[7:8], v7, 1
	v_not_b32_e32 v1, v3
	v_mov_b32_e32 v3, 0
	v_not_b32_e32 v13, v2
	v_and_b32_e32 v2, 0x200000, v10
	s_delay_alu instid0(VALU_DEP_4) | instskip(NEXT) | instid1(VALU_DEP_3)
	v_and_b32_e32 v1, 0, v1
	v_and_b32_e32 v0, v0, v13
	s_delay_alu instid0(VALU_DEP_3) | instskip(NEXT) | instid1(VALU_DEP_2)
	v_cmp_eq_u64_e64 s0, 0, v[2:3]
	v_cmp_eq_u64_e64 s1, v[0:1], v[7:8]
	v_cndmask_b32_e64 v0, v9, 0xffffff91, vcc_lo
	v_lshrrev_b32_e32 v1, 23, v10
                                        ; implicit-def: $vgpr7
	s_delay_alu instid0(VALU_DEP_3) | instskip(NEXT) | instid1(VALU_DEP_1)
	s_and_b32 vcc_lo, s0, s1
	v_add3_u32 v8, v0, v12, v1
	v_subrev_co_ci_u32_e32 v2, vcc_lo, 0, v10, vcc_lo
	s_mov_b32 s0, exec_lo
	s_delay_alu instid0(VALU_DEP_2) | instskip(NEXT) | instid1(VALU_DEP_2)
	v_add_nc_u32_e32 v9, -1, v8
	v_and_b32_e32 v0, 0x1fffff, v2
	s_delay_alu instid0(VALU_DEP_1) | instskip(SKIP_1) | instid1(VALU_DEP_4)
	v_add_co_u32 v0, vcc_lo, v0, v10
	v_add_co_ci_u32_e32 v1, vcc_lo, 0, v11, vcc_lo
	v_cmpx_ne_u32_e32 0, v9
	s_xor_b32 s0, exec_lo, s0
; %bb.9:
	s_delay_alu instid0(VALU_DEP_3) | instskip(SKIP_1) | instid1(VALU_DEP_2)
	v_and_b32_e32 v2, 0x1000000, v0
	v_bfe_u32 v7, v0, 24, 1
	v_cmp_eq_u64_e32 vcc_lo, 0, v[2:3]
	s_delay_alu instid0(VALU_DEP_2)
	v_lshrrev_b64 v[0:1], v7, v[0:1]
	v_cndmask_b32_e32 v7, v8, v9, vcc_lo
; %bb.10:
	s_and_not1_saveexec_b32 s0, s0
; %bb.11:
	s_delay_alu instid0(VALU_DEP_2)
	v_bfe_u32 v7, v0, 23, 1
; %bb.12:
	s_or_b32 exec_lo, exec_lo, s0
	s_delay_alu instid0(VALU_DEP_3) | instskip(NEXT) | instid1(VALU_DEP_2)
	v_lshrrev_b64 v[0:1], 21, v[0:1]
	v_cmp_gt_i32_e32 vcc_lo, 32, v7
	v_cmp_ne_u32_e64 s0, 0, v7
                                        ; implicit-def: $vgpr2
	s_delay_alu instid0(VALU_DEP_3) | instskip(NEXT) | instid1(VALU_DEP_1)
	v_dual_cndmask_b32 v1, 0, v1 :: v_dual_cndmask_b32 v0, 3, v0
	v_cmp_ne_u64_e32 vcc_lo, 0, v[0:1]
	s_delay_alu instid0(VALU_DEP_3) | instskip(NEXT) | instid1(SALU_CYCLE_1)
	s_or_b32 s0, s0, vcc_lo
	s_and_saveexec_b32 s1, s0
	s_delay_alu instid0(SALU_CYCLE_1)
	s_xor_b32 s0, exec_lo, s1
; %bb.13:
	v_min_i32_e32 v1, 31, v7
	s_delay_alu instid0(VALU_DEP_1) | instskip(NEXT) | instid1(VALU_DEP_1)
	v_lshl_or_b32 v1, v1, 2, v6
                                        ; implicit-def: $vgpr6
	v_and_or_b32 v2, v0, 3, v1
; %bb.14:
	s_and_not1_saveexec_b32 s0, s0
; %bb.15:
	v_mov_b32_e32 v2, v6
; %bb.16:
	s_or_b32 exec_lo, exec_lo, s0
.LBB87_17:
	s_delay_alu instid0(SALU_CYCLE_1)
	s_or_b32 exec_lo, exec_lo, s6
.LBB87_18:
	s_and_not1_saveexec_b32 s0, s3
	s_delay_alu instid0(SALU_CYCLE_1)
	s_or_b32 exec_lo, exec_lo, s0
                                        ; implicit-def: $vgpr7
                                        ; implicit-def: $vgpr0_vgpr1
.LBB87_19:
	s_and_not1_saveexec_b32 s0, s2
; %bb.20:
	v_cmp_eq_u64_e32 vcc_lo, 0, v[0:1]
	v_or_b32_e32 v3, 0x7f, v7
	s_delay_alu instid0(VALU_DEP_1)
	v_cndmask_b32_e32 v2, v3, v2, vcc_lo
; %bb.21:
	s_or_b32 exec_lo, exec_lo, s0
	v_add_co_u32 v0, vcc_lo, s4, v4
	v_add_co_ci_u32_e32 v1, vcc_lo, s5, v5, vcc_lo
	global_store_b8 v[0:1], v2, off
.LBB87_22:
	s_nop 0
	s_sendmsg sendmsg(MSG_DEALLOC_VGPRS)
	s_endpgm
	.section	.rodata,"a",@progbits
	.p2align	6, 0x0
	.amdhsa_kernel _Z11fill_kernelI13hipblaslt_bf8Z21hipblaslt_init_deviceIS0_Ev8ABC_dims24hipblaslt_initializationbPT_mmmmmEUlmE9_EvS5_mmT0_
		.amdhsa_group_segment_fixed_size 0
		.amdhsa_private_segment_fixed_size 0
		.amdhsa_kernarg_size 288
		.amdhsa_user_sgpr_count 15
		.amdhsa_user_sgpr_dispatch_ptr 0
		.amdhsa_user_sgpr_queue_ptr 0
		.amdhsa_user_sgpr_kernarg_segment_ptr 1
		.amdhsa_user_sgpr_dispatch_id 0
		.amdhsa_user_sgpr_private_segment_size 0
		.amdhsa_wavefront_size32 1
		.amdhsa_uses_dynamic_stack 0
		.amdhsa_enable_private_segment 0
		.amdhsa_system_sgpr_workgroup_id_x 1
		.amdhsa_system_sgpr_workgroup_id_y 0
		.amdhsa_system_sgpr_workgroup_id_z 0
		.amdhsa_system_sgpr_workgroup_info 0
		.amdhsa_system_vgpr_workitem_id 0
		.amdhsa_next_free_vgpr 17
		.amdhsa_next_free_sgpr 16
		.amdhsa_reserve_vcc 1
		.amdhsa_float_round_mode_32 0
		.amdhsa_float_round_mode_16_64 0
		.amdhsa_float_denorm_mode_32 3
		.amdhsa_float_denorm_mode_16_64 3
		.amdhsa_dx10_clamp 1
		.amdhsa_ieee_mode 1
		.amdhsa_fp16_overflow 0
		.amdhsa_workgroup_processor_mode 1
		.amdhsa_memory_ordered 1
		.amdhsa_forward_progress 0
		.amdhsa_shared_vgpr_count 0
		.amdhsa_exception_fp_ieee_invalid_op 0
		.amdhsa_exception_fp_denorm_src 0
		.amdhsa_exception_fp_ieee_div_zero 0
		.amdhsa_exception_fp_ieee_overflow 0
		.amdhsa_exception_fp_ieee_underflow 0
		.amdhsa_exception_fp_ieee_inexact 0
		.amdhsa_exception_int_div_zero 0
	.end_amdhsa_kernel
	.section	.text._Z11fill_kernelI13hipblaslt_bf8Z21hipblaslt_init_deviceIS0_Ev8ABC_dims24hipblaslt_initializationbPT_mmmmmEUlmE9_EvS5_mmT0_,"axG",@progbits,_Z11fill_kernelI13hipblaslt_bf8Z21hipblaslt_init_deviceIS0_Ev8ABC_dims24hipblaslt_initializationbPT_mmmmmEUlmE9_EvS5_mmT0_,comdat
.Lfunc_end87:
	.size	_Z11fill_kernelI13hipblaslt_bf8Z21hipblaslt_init_deviceIS0_Ev8ABC_dims24hipblaslt_initializationbPT_mmmmmEUlmE9_EvS5_mmT0_, .Lfunc_end87-_Z11fill_kernelI13hipblaslt_bf8Z21hipblaslt_init_deviceIS0_Ev8ABC_dims24hipblaslt_initializationbPT_mmmmmEUlmE9_EvS5_mmT0_
                                        ; -- End function
	.section	.AMDGPU.csdata,"",@progbits
; Kernel info:
; codeLenInByte = 2128
; NumSgprs: 18
; NumVgprs: 17
; ScratchSize: 0
; MemoryBound: 0
; FloatMode: 240
; IeeeMode: 1
; LDSByteSize: 0 bytes/workgroup (compile time only)
; SGPRBlocks: 2
; VGPRBlocks: 2
; NumSGPRsForWavesPerEU: 18
; NumVGPRsForWavesPerEU: 17
; Occupancy: 16
; WaveLimiterHint : 0
; COMPUTE_PGM_RSRC2:SCRATCH_EN: 0
; COMPUTE_PGM_RSRC2:USER_SGPR: 15
; COMPUTE_PGM_RSRC2:TRAP_HANDLER: 0
; COMPUTE_PGM_RSRC2:TGID_X_EN: 1
; COMPUTE_PGM_RSRC2:TGID_Y_EN: 0
; COMPUTE_PGM_RSRC2:TGID_Z_EN: 0
; COMPUTE_PGM_RSRC2:TIDIG_COMP_CNT: 0
	.section	.text._Z11fill_kernelIiZ21hipblaslt_init_deviceIiEv8ABC_dims24hipblaslt_initializationbPT_mmmmmEUlmE_EvS4_mmT0_,"axG",@progbits,_Z11fill_kernelIiZ21hipblaslt_init_deviceIiEv8ABC_dims24hipblaslt_initializationbPT_mmmmmEUlmE_EvS4_mmT0_,comdat
	.protected	_Z11fill_kernelIiZ21hipblaslt_init_deviceIiEv8ABC_dims24hipblaslt_initializationbPT_mmmmmEUlmE_EvS4_mmT0_ ; -- Begin function _Z11fill_kernelIiZ21hipblaslt_init_deviceIiEv8ABC_dims24hipblaslt_initializationbPT_mmmmmEUlmE_EvS4_mmT0_
	.globl	_Z11fill_kernelIiZ21hipblaslt_init_deviceIiEv8ABC_dims24hipblaslt_initializationbPT_mmmmmEUlmE_EvS4_mmT0_
	.p2align	8
	.type	_Z11fill_kernelIiZ21hipblaslt_init_deviceIiEv8ABC_dims24hipblaslt_initializationbPT_mmmmmEUlmE_EvS4_mmT0_,@function
_Z11fill_kernelIiZ21hipblaslt_init_deviceIiEv8ABC_dims24hipblaslt_initializationbPT_mmmmmEUlmE_EvS4_mmT0_: ; @_Z11fill_kernelIiZ21hipblaslt_init_deviceIiEv8ABC_dims24hipblaslt_initializationbPT_mmmmmEUlmE_EvS4_mmT0_
; %bb.0:
	s_clause 0x1
	s_load_b32 s2, s[0:1], 0x1b4
	s_load_b128 s[4:7], s[0:1], 0x0
	s_waitcnt lgkmcnt(0)
	s_and_b32 s2, s2, 0xffff
	s_delay_alu instid0(SALU_CYCLE_1) | instskip(SKIP_2) | instid1(VALU_DEP_1)
	v_mad_u64_u32 v[1:2], null, s15, s2, v[0:1]
	v_mov_b32_e32 v2, 0
	s_mov_b32 s2, exec_lo
	v_cmpx_gt_u64_e64 s[6:7], v[1:2]
	s_cbranch_execz .LBB88_2
; %bb.1:
	s_load_b64 s[2:3], s[0:1], 0x10
	s_mov_b32 s6, 0x19660d
	s_waitcnt lgkmcnt(0)
	v_add_co_u32 v0, s2, v1, s2
	s_delay_alu instid0(VALU_DEP_1) | instskip(NEXT) | instid1(VALU_DEP_2)
	v_add_co_ci_u32_e64 v1, null, 0, s3, s2
	v_mad_u64_u32 v[2:3], null, v0, s6, 0x3c6ef35f
	s_delay_alu instid0(VALU_DEP_1) | instskip(SKIP_1) | instid1(VALU_DEP_1)
	v_mad_u64_u32 v[4:5], null, 0x19660d, v1, v[3:4]
	v_lshlrev_b64 v[0:1], 2, v[0:1]
	v_add_co_u32 v0, vcc_lo, s4, v0
	s_delay_alu instid0(VALU_DEP_3) | instskip(NEXT) | instid1(VALU_DEP_3)
	v_mov_b32_e32 v3, v4
	v_add_co_ci_u32_e32 v1, vcc_lo, s5, v1, vcc_lo
	s_delay_alu instid0(VALU_DEP_2) | instskip(NEXT) | instid1(VALU_DEP_1)
	v_lshlrev_b64 v[4:5], 13, v[2:3]
	v_xor_b32_e32 v3, v5, v3
	s_delay_alu instid0(VALU_DEP_2) | instskip(NEXT) | instid1(VALU_DEP_1)
	v_xor_b32_e32 v2, v4, v2
	v_lshrrev_b64 v[4:5], 17, v[2:3]
	s_delay_alu instid0(VALU_DEP_1) | instskip(NEXT) | instid1(VALU_DEP_2)
	v_xor_b32_e32 v3, v5, v3
	v_xor_b32_e32 v2, v4, v2
	s_delay_alu instid0(VALU_DEP_1) | instskip(NEXT) | instid1(VALU_DEP_1)
	v_lshlrev_b64 v[4:5], 5, v[2:3]
	v_xor_b32_e32 v3, v5, v3
	s_delay_alu instid0(VALU_DEP_2) | instskip(NEXT) | instid1(VALU_DEP_1)
	v_xor_b32_e32 v2, v4, v2
	v_lshlrev_b64 v[4:5], 13, v[2:3]
	s_delay_alu instid0(VALU_DEP_1) | instskip(NEXT) | instid1(VALU_DEP_2)
	v_xor_b32_e32 v3, v5, v3
	v_xor_b32_e32 v2, v4, v2
	s_delay_alu instid0(VALU_DEP_1) | instskip(NEXT) | instid1(VALU_DEP_1)
	v_lshrrev_b64 v[4:5], 17, v[2:3]
	v_xor_b32_e32 v3, v5, v3
	s_delay_alu instid0(VALU_DEP_2) | instskip(NEXT) | instid1(VALU_DEP_1)
	v_xor_b32_e32 v2, v4, v2
	v_lshlrev_b64 v[4:5], 5, v[2:3]
	s_delay_alu instid0(VALU_DEP_1) | instskip(NEXT) | instid1(VALU_DEP_2)
	v_xor_b32_e32 v3, v5, v3
	v_xor_b32_e32 v2, v4, v2
	s_delay_alu instid0(VALU_DEP_1) | instskip(NEXT) | instid1(VALU_DEP_1)
	v_lshlrev_b64 v[4:5], 13, v[2:3]
	v_xor_b32_e32 v3, v5, v3
	s_delay_alu instid0(VALU_DEP_2) | instskip(NEXT) | instid1(VALU_DEP_1)
	v_xor_b32_e32 v2, v4, v2
	v_alignbit_b32 v3, v3, v2, 17
	s_delay_alu instid0(VALU_DEP_1) | instskip(NEXT) | instid1(VALU_DEP_1)
	v_xor_b32_e32 v2, v3, v2
	v_lshlrev_b32_e32 v3, 5, v2
	s_delay_alu instid0(VALU_DEP_1) | instskip(NEXT) | instid1(VALU_DEP_1)
	v_xor_b32_e32 v2, v3, v2
	v_mul_hi_u32 v3, 0x51eb851f, v2
	s_delay_alu instid0(VALU_DEP_1) | instskip(NEXT) | instid1(VALU_DEP_1)
	v_lshrrev_b32_e32 v3, 5, v3
	v_mul_lo_u32 v3, 0x64, v3
	s_delay_alu instid0(VALU_DEP_1) | instskip(NEXT) | instid1(VALU_DEP_1)
	v_sub_nc_u32_e32 v2, v2, v3
	v_lshlrev_b32_e32 v2, 2, v2
	global_load_b32 v2, v2, s[0:1] offset:24
	s_waitcnt vmcnt(0)
	global_store_b32 v[0:1], v2, off
.LBB88_2:
	s_nop 0
	s_sendmsg sendmsg(MSG_DEALLOC_VGPRS)
	s_endpgm
	.section	.rodata,"a",@progbits
	.p2align	6, 0x0
	.amdhsa_kernel _Z11fill_kernelIiZ21hipblaslt_init_deviceIiEv8ABC_dims24hipblaslt_initializationbPT_mmmmmEUlmE_EvS4_mmT0_
		.amdhsa_group_segment_fixed_size 0
		.amdhsa_private_segment_fixed_size 0
		.amdhsa_kernarg_size 680
		.amdhsa_user_sgpr_count 15
		.amdhsa_user_sgpr_dispatch_ptr 0
		.amdhsa_user_sgpr_queue_ptr 0
		.amdhsa_user_sgpr_kernarg_segment_ptr 1
		.amdhsa_user_sgpr_dispatch_id 0
		.amdhsa_user_sgpr_private_segment_size 0
		.amdhsa_wavefront_size32 1
		.amdhsa_uses_dynamic_stack 0
		.amdhsa_enable_private_segment 0
		.amdhsa_system_sgpr_workgroup_id_x 1
		.amdhsa_system_sgpr_workgroup_id_y 0
		.amdhsa_system_sgpr_workgroup_id_z 0
		.amdhsa_system_sgpr_workgroup_info 0
		.amdhsa_system_vgpr_workitem_id 0
		.amdhsa_next_free_vgpr 6
		.amdhsa_next_free_sgpr 16
		.amdhsa_reserve_vcc 1
		.amdhsa_float_round_mode_32 0
		.amdhsa_float_round_mode_16_64 0
		.amdhsa_float_denorm_mode_32 3
		.amdhsa_float_denorm_mode_16_64 3
		.amdhsa_dx10_clamp 1
		.amdhsa_ieee_mode 1
		.amdhsa_fp16_overflow 0
		.amdhsa_workgroup_processor_mode 1
		.amdhsa_memory_ordered 1
		.amdhsa_forward_progress 0
		.amdhsa_shared_vgpr_count 0
		.amdhsa_exception_fp_ieee_invalid_op 0
		.amdhsa_exception_fp_denorm_src 0
		.amdhsa_exception_fp_ieee_div_zero 0
		.amdhsa_exception_fp_ieee_overflow 0
		.amdhsa_exception_fp_ieee_underflow 0
		.amdhsa_exception_fp_ieee_inexact 0
		.amdhsa_exception_int_div_zero 0
	.end_amdhsa_kernel
	.section	.text._Z11fill_kernelIiZ21hipblaslt_init_deviceIiEv8ABC_dims24hipblaslt_initializationbPT_mmmmmEUlmE_EvS4_mmT0_,"axG",@progbits,_Z11fill_kernelIiZ21hipblaslt_init_deviceIiEv8ABC_dims24hipblaslt_initializationbPT_mmmmmEUlmE_EvS4_mmT0_,comdat
.Lfunc_end88:
	.size	_Z11fill_kernelIiZ21hipblaslt_init_deviceIiEv8ABC_dims24hipblaslt_initializationbPT_mmmmmEUlmE_EvS4_mmT0_, .Lfunc_end88-_Z11fill_kernelIiZ21hipblaslt_init_deviceIiEv8ABC_dims24hipblaslt_initializationbPT_mmmmmEUlmE_EvS4_mmT0_
                                        ; -- End function
	.section	.AMDGPU.csdata,"",@progbits
; Kernel info:
; codeLenInByte = 420
; NumSgprs: 18
; NumVgprs: 6
; ScratchSize: 0
; MemoryBound: 0
; FloatMode: 240
; IeeeMode: 1
; LDSByteSize: 0 bytes/workgroup (compile time only)
; SGPRBlocks: 2
; VGPRBlocks: 0
; NumSGPRsForWavesPerEU: 18
; NumVGPRsForWavesPerEU: 6
; Occupancy: 16
; WaveLimiterHint : 0
; COMPUTE_PGM_RSRC2:SCRATCH_EN: 0
; COMPUTE_PGM_RSRC2:USER_SGPR: 15
; COMPUTE_PGM_RSRC2:TRAP_HANDLER: 0
; COMPUTE_PGM_RSRC2:TGID_X_EN: 1
; COMPUTE_PGM_RSRC2:TGID_Y_EN: 0
; COMPUTE_PGM_RSRC2:TGID_Z_EN: 0
; COMPUTE_PGM_RSRC2:TIDIG_COMP_CNT: 0
	.section	.text._Z11fill_kernelIiZ21hipblaslt_init_deviceIiEv8ABC_dims24hipblaslt_initializationbPT_mmmmmEUlmE0_EvS4_mmT0_,"axG",@progbits,_Z11fill_kernelIiZ21hipblaslt_init_deviceIiEv8ABC_dims24hipblaslt_initializationbPT_mmmmmEUlmE0_EvS4_mmT0_,comdat
	.protected	_Z11fill_kernelIiZ21hipblaslt_init_deviceIiEv8ABC_dims24hipblaslt_initializationbPT_mmmmmEUlmE0_EvS4_mmT0_ ; -- Begin function _Z11fill_kernelIiZ21hipblaslt_init_deviceIiEv8ABC_dims24hipblaslt_initializationbPT_mmmmmEUlmE0_EvS4_mmT0_
	.globl	_Z11fill_kernelIiZ21hipblaslt_init_deviceIiEv8ABC_dims24hipblaslt_initializationbPT_mmmmmEUlmE0_EvS4_mmT0_
	.p2align	8
	.type	_Z11fill_kernelIiZ21hipblaslt_init_deviceIiEv8ABC_dims24hipblaslt_initializationbPT_mmmmmEUlmE0_EvS4_mmT0_,@function
_Z11fill_kernelIiZ21hipblaslt_init_deviceIiEv8ABC_dims24hipblaslt_initializationbPT_mmmmmEUlmE0_EvS4_mmT0_: ; @_Z11fill_kernelIiZ21hipblaslt_init_deviceIiEv8ABC_dims24hipblaslt_initializationbPT_mmmmmEUlmE0_EvS4_mmT0_
; %bb.0:
	s_clause 0x1
	s_load_b32 s2, s[0:1], 0x2c
	s_load_b128 s[4:7], s[0:1], 0x0
	s_waitcnt lgkmcnt(0)
	s_and_b32 s2, s2, 0xffff
	s_delay_alu instid0(SALU_CYCLE_1) | instskip(SKIP_2) | instid1(VALU_DEP_1)
	v_mad_u64_u32 v[1:2], null, s15, s2, v[0:1]
	v_mov_b32_e32 v2, 0
	s_mov_b32 s2, exec_lo
	v_cmpx_gt_u64_e64 s[6:7], v[1:2]
	s_cbranch_execz .LBB89_2
; %bb.1:
	s_load_b64 s[0:1], s[0:1], 0x10
	s_mov_b32 s2, 0x19660d
	s_waitcnt lgkmcnt(0)
	v_add_co_u32 v0, s0, v1, s0
	s_delay_alu instid0(VALU_DEP_1) | instskip(NEXT) | instid1(VALU_DEP_2)
	v_add_co_ci_u32_e64 v1, null, 0, s1, s0
	v_mad_u64_u32 v[2:3], null, v0, s2, 0x3c6ef35f
	s_delay_alu instid0(VALU_DEP_1) | instskip(SKIP_1) | instid1(VALU_DEP_1)
	v_mad_u64_u32 v[4:5], null, 0x19660d, v1, v[3:4]
	v_lshlrev_b64 v[0:1], 2, v[0:1]
	v_add_co_u32 v0, vcc_lo, s4, v0
	s_delay_alu instid0(VALU_DEP_3) | instskip(NEXT) | instid1(VALU_DEP_3)
	v_mov_b32_e32 v3, v4
	v_add_co_ci_u32_e32 v1, vcc_lo, s5, v1, vcc_lo
	s_delay_alu instid0(VALU_DEP_2) | instskip(NEXT) | instid1(VALU_DEP_1)
	v_lshlrev_b64 v[4:5], 13, v[2:3]
	v_xor_b32_e32 v3, v5, v3
	s_delay_alu instid0(VALU_DEP_2) | instskip(NEXT) | instid1(VALU_DEP_1)
	v_xor_b32_e32 v2, v4, v2
	v_lshrrev_b64 v[4:5], 17, v[2:3]
	s_delay_alu instid0(VALU_DEP_1) | instskip(NEXT) | instid1(VALU_DEP_2)
	v_xor_b32_e32 v3, v5, v3
	v_xor_b32_e32 v2, v4, v2
	s_delay_alu instid0(VALU_DEP_1) | instskip(NEXT) | instid1(VALU_DEP_1)
	v_lshlrev_b64 v[4:5], 5, v[2:3]
	v_xor_b32_e32 v3, v5, v3
	s_delay_alu instid0(VALU_DEP_2) | instskip(NEXT) | instid1(VALU_DEP_1)
	v_xor_b32_e32 v2, v4, v2
	v_lshlrev_b64 v[4:5], 13, v[2:3]
	s_delay_alu instid0(VALU_DEP_1) | instskip(NEXT) | instid1(VALU_DEP_2)
	v_xor_b32_e32 v3, v5, v3
	v_xor_b32_e32 v2, v4, v2
	s_delay_alu instid0(VALU_DEP_1) | instskip(NEXT) | instid1(VALU_DEP_1)
	v_lshrrev_b64 v[4:5], 17, v[2:3]
	v_xor_b32_e32 v3, v5, v3
	s_delay_alu instid0(VALU_DEP_2) | instskip(NEXT) | instid1(VALU_DEP_1)
	v_xor_b32_e32 v2, v4, v2
	v_lshlrev_b64 v[4:5], 5, v[2:3]
	s_delay_alu instid0(VALU_DEP_1) | instskip(NEXT) | instid1(VALU_DEP_2)
	v_xor_b32_e32 v3, v5, v3
	v_xor_b32_e32 v2, v4, v2
	s_delay_alu instid0(VALU_DEP_1) | instskip(NEXT) | instid1(VALU_DEP_1)
	v_lshlrev_b64 v[4:5], 13, v[2:3]
	v_xor_b32_e32 v3, v5, v3
	s_delay_alu instid0(VALU_DEP_2) | instskip(NEXT) | instid1(VALU_DEP_1)
	v_xor_b32_e32 v2, v4, v2
	v_alignbit_b32 v3, v3, v2, 17
	s_delay_alu instid0(VALU_DEP_1) | instskip(NEXT) | instid1(VALU_DEP_1)
	v_xor_b32_e32 v2, v3, v2
	v_lshlrev_b32_e32 v3, 5, v2
	s_delay_alu instid0(VALU_DEP_1) | instskip(NEXT) | instid1(VALU_DEP_1)
	v_xor_b32_e32 v2, v3, v2
	v_mul_hi_u32 v3, 0xcccccccd, v2
	s_delay_alu instid0(VALU_DEP_1) | instskip(NEXT) | instid1(VALU_DEP_1)
	v_lshrrev_b32_e32 v3, 3, v3
	v_mul_lo_u32 v3, v3, 10
	s_delay_alu instid0(VALU_DEP_1) | instskip(NEXT) | instid1(VALU_DEP_1)
	v_sub_nc_u32_e32 v2, v2, v3
	v_add_nc_u32_e32 v2, 1, v2
	global_store_b32 v[0:1], v2, off
.LBB89_2:
	s_nop 0
	s_sendmsg sendmsg(MSG_DEALLOC_VGPRS)
	s_endpgm
	.section	.rodata,"a",@progbits
	.p2align	6, 0x0
	.amdhsa_kernel _Z11fill_kernelIiZ21hipblaslt_init_deviceIiEv8ABC_dims24hipblaslt_initializationbPT_mmmmmEUlmE0_EvS4_mmT0_
		.amdhsa_group_segment_fixed_size 0
		.amdhsa_private_segment_fixed_size 0
		.amdhsa_kernarg_size 288
		.amdhsa_user_sgpr_count 15
		.amdhsa_user_sgpr_dispatch_ptr 0
		.amdhsa_user_sgpr_queue_ptr 0
		.amdhsa_user_sgpr_kernarg_segment_ptr 1
		.amdhsa_user_sgpr_dispatch_id 0
		.amdhsa_user_sgpr_private_segment_size 0
		.amdhsa_wavefront_size32 1
		.amdhsa_uses_dynamic_stack 0
		.amdhsa_enable_private_segment 0
		.amdhsa_system_sgpr_workgroup_id_x 1
		.amdhsa_system_sgpr_workgroup_id_y 0
		.amdhsa_system_sgpr_workgroup_id_z 0
		.amdhsa_system_sgpr_workgroup_info 0
		.amdhsa_system_vgpr_workitem_id 0
		.amdhsa_next_free_vgpr 6
		.amdhsa_next_free_sgpr 16
		.amdhsa_reserve_vcc 1
		.amdhsa_float_round_mode_32 0
		.amdhsa_float_round_mode_16_64 0
		.amdhsa_float_denorm_mode_32 3
		.amdhsa_float_denorm_mode_16_64 3
		.amdhsa_dx10_clamp 1
		.amdhsa_ieee_mode 1
		.amdhsa_fp16_overflow 0
		.amdhsa_workgroup_processor_mode 1
		.amdhsa_memory_ordered 1
		.amdhsa_forward_progress 0
		.amdhsa_shared_vgpr_count 0
		.amdhsa_exception_fp_ieee_invalid_op 0
		.amdhsa_exception_fp_denorm_src 0
		.amdhsa_exception_fp_ieee_div_zero 0
		.amdhsa_exception_fp_ieee_overflow 0
		.amdhsa_exception_fp_ieee_underflow 0
		.amdhsa_exception_fp_ieee_inexact 0
		.amdhsa_exception_int_div_zero 0
	.end_amdhsa_kernel
	.section	.text._Z11fill_kernelIiZ21hipblaslt_init_deviceIiEv8ABC_dims24hipblaslt_initializationbPT_mmmmmEUlmE0_EvS4_mmT0_,"axG",@progbits,_Z11fill_kernelIiZ21hipblaslt_init_deviceIiEv8ABC_dims24hipblaslt_initializationbPT_mmmmmEUlmE0_EvS4_mmT0_,comdat
.Lfunc_end89:
	.size	_Z11fill_kernelIiZ21hipblaslt_init_deviceIiEv8ABC_dims24hipblaslt_initializationbPT_mmmmmEUlmE0_EvS4_mmT0_, .Lfunc_end89-_Z11fill_kernelIiZ21hipblaslt_init_deviceIiEv8ABC_dims24hipblaslt_initializationbPT_mmmmmEUlmE0_EvS4_mmT0_
                                        ; -- End function
	.section	.AMDGPU.csdata,"",@progbits
; Kernel info:
; codeLenInByte = 404
; NumSgprs: 18
; NumVgprs: 6
; ScratchSize: 0
; MemoryBound: 0
; FloatMode: 240
; IeeeMode: 1
; LDSByteSize: 0 bytes/workgroup (compile time only)
; SGPRBlocks: 2
; VGPRBlocks: 0
; NumSGPRsForWavesPerEU: 18
; NumVGPRsForWavesPerEU: 6
; Occupancy: 16
; WaveLimiterHint : 0
; COMPUTE_PGM_RSRC2:SCRATCH_EN: 0
; COMPUTE_PGM_RSRC2:USER_SGPR: 15
; COMPUTE_PGM_RSRC2:TRAP_HANDLER: 0
; COMPUTE_PGM_RSRC2:TGID_X_EN: 1
; COMPUTE_PGM_RSRC2:TGID_Y_EN: 0
; COMPUTE_PGM_RSRC2:TGID_Z_EN: 0
; COMPUTE_PGM_RSRC2:TIDIG_COMP_CNT: 0
	.section	.text._Z11fill_kernelIiZ21hipblaslt_init_deviceIiEv8ABC_dims24hipblaslt_initializationbPT_mmmmmEUlmE1_EvS4_mmT0_,"axG",@progbits,_Z11fill_kernelIiZ21hipblaslt_init_deviceIiEv8ABC_dims24hipblaslt_initializationbPT_mmmmmEUlmE1_EvS4_mmT0_,comdat
	.protected	_Z11fill_kernelIiZ21hipblaslt_init_deviceIiEv8ABC_dims24hipblaslt_initializationbPT_mmmmmEUlmE1_EvS4_mmT0_ ; -- Begin function _Z11fill_kernelIiZ21hipblaslt_init_deviceIiEv8ABC_dims24hipblaslt_initializationbPT_mmmmmEUlmE1_EvS4_mmT0_
	.globl	_Z11fill_kernelIiZ21hipblaslt_init_deviceIiEv8ABC_dims24hipblaslt_initializationbPT_mmmmmEUlmE1_EvS4_mmT0_
	.p2align	8
	.type	_Z11fill_kernelIiZ21hipblaslt_init_deviceIiEv8ABC_dims24hipblaslt_initializationbPT_mmmmmEUlmE1_EvS4_mmT0_,@function
_Z11fill_kernelIiZ21hipblaslt_init_deviceIiEv8ABC_dims24hipblaslt_initializationbPT_mmmmmEUlmE1_EvS4_mmT0_: ; @_Z11fill_kernelIiZ21hipblaslt_init_deviceIiEv8ABC_dims24hipblaslt_initializationbPT_mmmmmEUlmE1_EvS4_mmT0_
; %bb.0:
	s_clause 0x1
	s_load_b32 s2, s[0:1], 0x34
	s_load_b128 s[4:7], s[0:1], 0x0
	s_waitcnt lgkmcnt(0)
	s_and_b32 s2, s2, 0xffff
	s_delay_alu instid0(SALU_CYCLE_1) | instskip(SKIP_2) | instid1(VALU_DEP_1)
	v_mad_u64_u32 v[1:2], null, s15, s2, v[0:1]
	v_mov_b32_e32 v2, 0
	s_mov_b32 s2, exec_lo
	v_cmpx_gt_u64_e64 s[6:7], v[1:2]
	s_cbranch_execz .LBB90_10
; %bb.1:
	s_clause 0x1
	s_load_b64 s[2:3], s[0:1], 0x10
	s_load_b128 s[8:11], s[0:1], 0x18
	s_waitcnt lgkmcnt(0)
	v_add_co_u32 v0, s0, v1, s2
	s_delay_alu instid0(VALU_DEP_1) | instskip(NEXT) | instid1(VALU_DEP_1)
	v_add_co_ci_u32_e64 v1, null, 0, s3, s0
	v_or_b32_e32 v3, s9, v1
	s_delay_alu instid0(VALU_DEP_1) | instskip(SKIP_1) | instid1(SALU_CYCLE_1)
	v_cmp_ne_u64_e32 vcc_lo, 0, v[2:3]
                                        ; implicit-def: $vgpr2_vgpr3
	s_and_saveexec_b32 s0, vcc_lo
	s_xor_b32 s1, exec_lo, s0
	s_cbranch_execz .LBB90_3
; %bb.2:
	v_cvt_f32_u32_e32 v2, s8
	v_cvt_f32_u32_e32 v3, s9
	s_sub_u32 s0, 0, s8
	s_subb_u32 s2, 0, s9
	s_delay_alu instid0(VALU_DEP_1) | instskip(NEXT) | instid1(VALU_DEP_1)
	v_fmamk_f32 v2, v3, 0x4f800000, v2
	v_rcp_f32_e32 v2, v2
	s_waitcnt_depctr 0xfff
	v_mul_f32_e32 v2, 0x5f7ffffc, v2
	s_delay_alu instid0(VALU_DEP_1) | instskip(NEXT) | instid1(VALU_DEP_1)
	v_mul_f32_e32 v3, 0x2f800000, v2
	v_trunc_f32_e32 v3, v3
	s_delay_alu instid0(VALU_DEP_1) | instskip(SKIP_1) | instid1(VALU_DEP_2)
	v_fmamk_f32 v2, v3, 0xcf800000, v2
	v_cvt_u32_f32_e32 v3, v3
	v_cvt_u32_f32_e32 v2, v2
	s_delay_alu instid0(VALU_DEP_2) | instskip(NEXT) | instid1(VALU_DEP_2)
	v_mul_lo_u32 v4, s0, v3
	v_mul_hi_u32 v5, s0, v2
	v_mul_lo_u32 v6, s2, v2
	s_delay_alu instid0(VALU_DEP_2) | instskip(SKIP_1) | instid1(VALU_DEP_2)
	v_add_nc_u32_e32 v4, v5, v4
	v_mul_lo_u32 v5, s0, v2
	v_add_nc_u32_e32 v4, v4, v6
	s_delay_alu instid0(VALU_DEP_2) | instskip(NEXT) | instid1(VALU_DEP_2)
	v_mul_hi_u32 v6, v2, v5
	v_mul_lo_u32 v7, v2, v4
	v_mul_hi_u32 v8, v2, v4
	v_mul_hi_u32 v9, v3, v5
	v_mul_lo_u32 v5, v3, v5
	v_mul_hi_u32 v10, v3, v4
	v_mul_lo_u32 v4, v3, v4
	v_add_co_u32 v6, vcc_lo, v6, v7
	v_add_co_ci_u32_e32 v7, vcc_lo, 0, v8, vcc_lo
	s_delay_alu instid0(VALU_DEP_2) | instskip(NEXT) | instid1(VALU_DEP_2)
	v_add_co_u32 v5, vcc_lo, v6, v5
	v_add_co_ci_u32_e32 v5, vcc_lo, v7, v9, vcc_lo
	v_add_co_ci_u32_e32 v6, vcc_lo, 0, v10, vcc_lo
	s_delay_alu instid0(VALU_DEP_2) | instskip(NEXT) | instid1(VALU_DEP_2)
	v_add_co_u32 v4, vcc_lo, v5, v4
	v_add_co_ci_u32_e32 v5, vcc_lo, 0, v6, vcc_lo
	s_delay_alu instid0(VALU_DEP_2) | instskip(NEXT) | instid1(VALU_DEP_2)
	v_add_co_u32 v2, vcc_lo, v2, v4
	v_add_co_ci_u32_e32 v3, vcc_lo, v3, v5, vcc_lo
	s_delay_alu instid0(VALU_DEP_2) | instskip(SKIP_1) | instid1(VALU_DEP_3)
	v_mul_hi_u32 v4, s0, v2
	v_mul_lo_u32 v6, s2, v2
	v_mul_lo_u32 v5, s0, v3
	s_delay_alu instid0(VALU_DEP_1) | instskip(SKIP_1) | instid1(VALU_DEP_2)
	v_add_nc_u32_e32 v4, v4, v5
	v_mul_lo_u32 v5, s0, v2
	v_add_nc_u32_e32 v4, v4, v6
	s_delay_alu instid0(VALU_DEP_2) | instskip(NEXT) | instid1(VALU_DEP_2)
	v_mul_hi_u32 v6, v2, v5
	v_mul_lo_u32 v7, v2, v4
	v_mul_hi_u32 v8, v2, v4
	v_mul_hi_u32 v9, v3, v5
	v_mul_lo_u32 v5, v3, v5
	v_mul_hi_u32 v10, v3, v4
	v_mul_lo_u32 v4, v3, v4
	v_add_co_u32 v6, vcc_lo, v6, v7
	v_add_co_ci_u32_e32 v7, vcc_lo, 0, v8, vcc_lo
	s_delay_alu instid0(VALU_DEP_2) | instskip(NEXT) | instid1(VALU_DEP_2)
	v_add_co_u32 v5, vcc_lo, v6, v5
	v_add_co_ci_u32_e32 v5, vcc_lo, v7, v9, vcc_lo
	v_add_co_ci_u32_e32 v6, vcc_lo, 0, v10, vcc_lo
	s_delay_alu instid0(VALU_DEP_2) | instskip(NEXT) | instid1(VALU_DEP_2)
	v_add_co_u32 v4, vcc_lo, v5, v4
	v_add_co_ci_u32_e32 v5, vcc_lo, 0, v6, vcc_lo
	s_delay_alu instid0(VALU_DEP_2) | instskip(NEXT) | instid1(VALU_DEP_2)
	v_add_co_u32 v6, vcc_lo, v2, v4
	v_add_co_ci_u32_e32 v8, vcc_lo, v3, v5, vcc_lo
	s_delay_alu instid0(VALU_DEP_2) | instskip(SKIP_1) | instid1(VALU_DEP_3)
	v_mul_hi_u32 v9, v0, v6
	v_mad_u64_u32 v[4:5], null, v1, v6, 0
	v_mad_u64_u32 v[2:3], null, v0, v8, 0
	;; [unrolled: 1-line block ×3, first 2 shown]
	s_delay_alu instid0(VALU_DEP_2) | instskip(NEXT) | instid1(VALU_DEP_3)
	v_add_co_u32 v2, vcc_lo, v9, v2
	v_add_co_ci_u32_e32 v3, vcc_lo, 0, v3, vcc_lo
	s_delay_alu instid0(VALU_DEP_2) | instskip(NEXT) | instid1(VALU_DEP_2)
	v_add_co_u32 v2, vcc_lo, v2, v4
	v_add_co_ci_u32_e32 v2, vcc_lo, v3, v5, vcc_lo
	v_add_co_ci_u32_e32 v3, vcc_lo, 0, v7, vcc_lo
	s_delay_alu instid0(VALU_DEP_2) | instskip(NEXT) | instid1(VALU_DEP_2)
	v_add_co_u32 v4, vcc_lo, v2, v6
	v_add_co_ci_u32_e32 v5, vcc_lo, 0, v3, vcc_lo
	s_delay_alu instid0(VALU_DEP_2) | instskip(SKIP_1) | instid1(VALU_DEP_3)
	v_mul_lo_u32 v6, s9, v4
	v_mad_u64_u32 v[2:3], null, s8, v4, 0
	v_mul_lo_u32 v4, s8, v5
	s_delay_alu instid0(VALU_DEP_2) | instskip(NEXT) | instid1(VALU_DEP_2)
	v_sub_co_u32 v2, vcc_lo, v0, v2
	v_add3_u32 v3, v3, v4, v6
	s_delay_alu instid0(VALU_DEP_1) | instskip(NEXT) | instid1(VALU_DEP_1)
	v_sub_nc_u32_e32 v4, v1, v3
	v_subrev_co_ci_u32_e64 v4, s0, s9, v4, vcc_lo
	v_sub_co_ci_u32_e32 v3, vcc_lo, v1, v3, vcc_lo
	v_sub_co_u32 v5, vcc_lo, v2, s8
	s_delay_alu instid0(VALU_DEP_1) | instskip(SKIP_3) | instid1(VALU_DEP_3)
	v_subrev_co_ci_u32_e64 v6, s0, 0, v4, vcc_lo
	v_cmp_le_u32_e64 s0, s8, v2
	v_subrev_co_ci_u32_e32 v4, vcc_lo, s9, v4, vcc_lo
	v_cmp_le_u32_e32 vcc_lo, s9, v3
	v_cndmask_b32_e64 v7, 0, -1, s0
	v_cmp_le_u32_e64 s0, s8, v5
	v_cndmask_b32_e64 v10, 0, -1, vcc_lo
	v_cmp_eq_u32_e32 vcc_lo, s9, v6
	s_delay_alu instid0(VALU_DEP_3) | instskip(SKIP_1) | instid1(VALU_DEP_1)
	v_cndmask_b32_e64 v8, 0, -1, s0
	v_cmp_le_u32_e64 s0, s9, v6
	v_cndmask_b32_e64 v9, 0, -1, s0
	v_cmp_eq_u32_e64 s0, s9, v3
	s_delay_alu instid0(VALU_DEP_2) | instskip(SKIP_2) | instid1(VALU_DEP_3)
	v_cndmask_b32_e32 v8, v9, v8, vcc_lo
	v_sub_co_u32 v9, vcc_lo, v5, s8
	v_subrev_co_ci_u32_e32 v4, vcc_lo, 0, v4, vcc_lo
	v_cmp_ne_u32_e32 vcc_lo, 0, v8
	v_cndmask_b32_e64 v7, v10, v7, s0
	s_delay_alu instid0(VALU_DEP_3) | instskip(NEXT) | instid1(VALU_DEP_2)
	v_dual_cndmask_b32 v4, v6, v4 :: v_dual_cndmask_b32 v5, v5, v9
	v_cmp_ne_u32_e32 vcc_lo, 0, v7
	s_delay_alu instid0(VALU_DEP_2)
	v_dual_cndmask_b32 v3, v3, v4 :: v_dual_cndmask_b32 v2, v2, v5
.LBB90_3:
	s_and_not1_saveexec_b32 s0, s1
	s_cbranch_execz .LBB90_5
; %bb.4:
	v_cvt_f32_u32_e32 v2, s8
	s_sub_i32 s1, 0, s8
	s_delay_alu instid0(VALU_DEP_1) | instskip(SKIP_2) | instid1(VALU_DEP_1)
	v_rcp_iflag_f32_e32 v2, v2
	s_waitcnt_depctr 0xfff
	v_mul_f32_e32 v2, 0x4f7ffffe, v2
	v_cvt_u32_f32_e32 v2, v2
	s_delay_alu instid0(VALU_DEP_1) | instskip(NEXT) | instid1(VALU_DEP_1)
	v_mul_lo_u32 v3, s1, v2
	v_mul_hi_u32 v3, v2, v3
	s_delay_alu instid0(VALU_DEP_1) | instskip(NEXT) | instid1(VALU_DEP_1)
	v_add_nc_u32_e32 v2, v2, v3
	v_mul_hi_u32 v2, v0, v2
	s_delay_alu instid0(VALU_DEP_1) | instskip(NEXT) | instid1(VALU_DEP_1)
	v_mul_lo_u32 v2, v2, s8
	v_sub_nc_u32_e32 v2, v0, v2
	s_delay_alu instid0(VALU_DEP_1) | instskip(SKIP_1) | instid1(VALU_DEP_2)
	v_subrev_nc_u32_e32 v3, s8, v2
	v_cmp_le_u32_e32 vcc_lo, s8, v2
	v_cndmask_b32_e32 v2, v2, v3, vcc_lo
	s_delay_alu instid0(VALU_DEP_1) | instskip(SKIP_1) | instid1(VALU_DEP_2)
	v_subrev_nc_u32_e32 v3, s8, v2
	v_cmp_le_u32_e32 vcc_lo, s8, v2
	v_dual_cndmask_b32 v2, v2, v3 :: v_dual_mov_b32 v3, 0
.LBB90_5:
	s_or_b32 exec_lo, exec_lo, s0
	s_delay_alu instid0(VALU_DEP_1) | instskip(SKIP_1) | instid1(VALU_DEP_1)
	v_or_b32_e32 v5, s11, v3
	v_mov_b32_e32 v4, 0
	v_cmp_ne_u64_e32 vcc_lo, 0, v[4:5]
                                        ; implicit-def: $vgpr4_vgpr5
	s_and_saveexec_b32 s0, vcc_lo
	s_delay_alu instid0(SALU_CYCLE_1)
	s_xor_b32 s1, exec_lo, s0
	s_cbranch_execz .LBB90_7
; %bb.6:
	v_cvt_f32_u32_e32 v4, s10
	v_cvt_f32_u32_e32 v5, s11
	s_sub_u32 s0, 0, s10
	s_subb_u32 s2, 0, s11
	s_delay_alu instid0(VALU_DEP_1) | instskip(NEXT) | instid1(VALU_DEP_1)
	v_fmamk_f32 v4, v5, 0x4f800000, v4
	v_rcp_f32_e32 v4, v4
	s_waitcnt_depctr 0xfff
	v_mul_f32_e32 v4, 0x5f7ffffc, v4
	s_delay_alu instid0(VALU_DEP_1) | instskip(NEXT) | instid1(VALU_DEP_1)
	v_mul_f32_e32 v5, 0x2f800000, v4
	v_trunc_f32_e32 v5, v5
	s_delay_alu instid0(VALU_DEP_1) | instskip(SKIP_1) | instid1(VALU_DEP_2)
	v_fmamk_f32 v4, v5, 0xcf800000, v4
	v_cvt_u32_f32_e32 v5, v5
	v_cvt_u32_f32_e32 v4, v4
	s_delay_alu instid0(VALU_DEP_2) | instskip(NEXT) | instid1(VALU_DEP_2)
	v_mul_lo_u32 v6, s0, v5
	v_mul_hi_u32 v7, s0, v4
	v_mul_lo_u32 v8, s2, v4
	s_delay_alu instid0(VALU_DEP_2) | instskip(SKIP_1) | instid1(VALU_DEP_2)
	v_add_nc_u32_e32 v6, v7, v6
	v_mul_lo_u32 v7, s0, v4
	v_add_nc_u32_e32 v6, v6, v8
	s_delay_alu instid0(VALU_DEP_2) | instskip(NEXT) | instid1(VALU_DEP_2)
	v_mul_hi_u32 v8, v4, v7
	v_mul_lo_u32 v9, v4, v6
	v_mul_hi_u32 v10, v4, v6
	v_mul_hi_u32 v11, v5, v7
	v_mul_lo_u32 v7, v5, v7
	v_mul_hi_u32 v12, v5, v6
	v_mul_lo_u32 v6, v5, v6
	v_add_co_u32 v8, vcc_lo, v8, v9
	v_add_co_ci_u32_e32 v9, vcc_lo, 0, v10, vcc_lo
	s_delay_alu instid0(VALU_DEP_2) | instskip(NEXT) | instid1(VALU_DEP_2)
	v_add_co_u32 v7, vcc_lo, v8, v7
	v_add_co_ci_u32_e32 v7, vcc_lo, v9, v11, vcc_lo
	v_add_co_ci_u32_e32 v8, vcc_lo, 0, v12, vcc_lo
	s_delay_alu instid0(VALU_DEP_2) | instskip(NEXT) | instid1(VALU_DEP_2)
	v_add_co_u32 v6, vcc_lo, v7, v6
	v_add_co_ci_u32_e32 v7, vcc_lo, 0, v8, vcc_lo
	s_delay_alu instid0(VALU_DEP_2) | instskip(NEXT) | instid1(VALU_DEP_2)
	v_add_co_u32 v4, vcc_lo, v4, v6
	v_add_co_ci_u32_e32 v5, vcc_lo, v5, v7, vcc_lo
	s_delay_alu instid0(VALU_DEP_2) | instskip(SKIP_1) | instid1(VALU_DEP_3)
	v_mul_hi_u32 v6, s0, v4
	v_mul_lo_u32 v8, s2, v4
	v_mul_lo_u32 v7, s0, v5
	s_delay_alu instid0(VALU_DEP_1) | instskip(SKIP_1) | instid1(VALU_DEP_2)
	v_add_nc_u32_e32 v6, v6, v7
	v_mul_lo_u32 v7, s0, v4
	v_add_nc_u32_e32 v6, v6, v8
	s_delay_alu instid0(VALU_DEP_2) | instskip(NEXT) | instid1(VALU_DEP_2)
	v_mul_hi_u32 v8, v4, v7
	v_mul_lo_u32 v9, v4, v6
	v_mul_hi_u32 v10, v4, v6
	v_mul_hi_u32 v11, v5, v7
	v_mul_lo_u32 v7, v5, v7
	v_mul_hi_u32 v12, v5, v6
	v_mul_lo_u32 v6, v5, v6
	v_add_co_u32 v8, vcc_lo, v8, v9
	v_add_co_ci_u32_e32 v9, vcc_lo, 0, v10, vcc_lo
	s_delay_alu instid0(VALU_DEP_2) | instskip(NEXT) | instid1(VALU_DEP_2)
	v_add_co_u32 v7, vcc_lo, v8, v7
	v_add_co_ci_u32_e32 v7, vcc_lo, v9, v11, vcc_lo
	v_add_co_ci_u32_e32 v8, vcc_lo, 0, v12, vcc_lo
	s_delay_alu instid0(VALU_DEP_2) | instskip(NEXT) | instid1(VALU_DEP_2)
	v_add_co_u32 v6, vcc_lo, v7, v6
	v_add_co_ci_u32_e32 v7, vcc_lo, 0, v8, vcc_lo
	s_delay_alu instid0(VALU_DEP_2) | instskip(NEXT) | instid1(VALU_DEP_2)
	v_add_co_u32 v8, vcc_lo, v4, v6
	v_add_co_ci_u32_e32 v10, vcc_lo, v5, v7, vcc_lo
	s_delay_alu instid0(VALU_DEP_2) | instskip(SKIP_1) | instid1(VALU_DEP_3)
	v_mul_hi_u32 v11, v2, v8
	v_mad_u64_u32 v[6:7], null, v3, v8, 0
	v_mad_u64_u32 v[4:5], null, v2, v10, 0
	;; [unrolled: 1-line block ×3, first 2 shown]
	s_delay_alu instid0(VALU_DEP_2) | instskip(NEXT) | instid1(VALU_DEP_3)
	v_add_co_u32 v4, vcc_lo, v11, v4
	v_add_co_ci_u32_e32 v5, vcc_lo, 0, v5, vcc_lo
	s_delay_alu instid0(VALU_DEP_2) | instskip(NEXT) | instid1(VALU_DEP_2)
	v_add_co_u32 v4, vcc_lo, v4, v6
	v_add_co_ci_u32_e32 v4, vcc_lo, v5, v7, vcc_lo
	v_add_co_ci_u32_e32 v5, vcc_lo, 0, v9, vcc_lo
	s_delay_alu instid0(VALU_DEP_2) | instskip(NEXT) | instid1(VALU_DEP_2)
	v_add_co_u32 v6, vcc_lo, v4, v8
	v_add_co_ci_u32_e32 v7, vcc_lo, 0, v5, vcc_lo
	s_delay_alu instid0(VALU_DEP_2) | instskip(SKIP_1) | instid1(VALU_DEP_3)
	v_mul_lo_u32 v8, s11, v6
	v_mad_u64_u32 v[4:5], null, s10, v6, 0
	v_mul_lo_u32 v7, s10, v7
	s_delay_alu instid0(VALU_DEP_2) | instskip(NEXT) | instid1(VALU_DEP_2)
	v_sub_co_u32 v4, vcc_lo, v2, v4
	v_add3_u32 v5, v5, v7, v8
	v_add_co_u32 v8, s0, v6, 2
	s_delay_alu instid0(VALU_DEP_2) | instskip(NEXT) | instid1(VALU_DEP_1)
	v_sub_nc_u32_e32 v7, v3, v5
	v_subrev_co_ci_u32_e64 v7, s0, s11, v7, vcc_lo
	v_sub_co_u32 v9, s0, v4, s10
	v_sub_co_ci_u32_e32 v3, vcc_lo, v3, v5, vcc_lo
	s_delay_alu instid0(VALU_DEP_3) | instskip(NEXT) | instid1(VALU_DEP_3)
	v_subrev_co_ci_u32_e64 v7, s0, 0, v7, s0
	v_cmp_le_u32_e32 vcc_lo, s10, v9
	v_cndmask_b32_e64 v5, 0, -1, vcc_lo
	s_delay_alu instid0(VALU_DEP_3)
	v_cmp_le_u32_e32 vcc_lo, s11, v7
	v_cndmask_b32_e64 v9, 0, -1, vcc_lo
	v_cmp_le_u32_e32 vcc_lo, s10, v4
	v_cndmask_b32_e64 v4, 0, -1, vcc_lo
	;; [unrolled: 2-line block ×3, first 2 shown]
	v_cmp_eq_u32_e32 vcc_lo, s11, v7
	v_cndmask_b32_e32 v5, v9, v5, vcc_lo
	v_add_co_u32 v7, vcc_lo, v6, 1
	v_cmp_eq_u32_e32 vcc_lo, s11, v3
	v_cndmask_b32_e32 v3, v10, v4, vcc_lo
	s_delay_alu instid0(VALU_DEP_4) | instskip(NEXT) | instid1(VALU_DEP_4)
	v_cmp_ne_u32_e32 vcc_lo, 0, v5
	v_cndmask_b32_e32 v4, v7, v8, vcc_lo
	s_delay_alu instid0(VALU_DEP_3) | instskip(NEXT) | instid1(VALU_DEP_2)
	v_cmp_ne_u32_e32 vcc_lo, 0, v3
	v_cndmask_b32_e32 v4, v6, v4, vcc_lo
.LBB90_7:
	s_and_not1_saveexec_b32 s0, s1
	s_cbranch_execz .LBB90_9
; %bb.8:
	v_cvt_f32_u32_e32 v3, s10
	s_sub_i32 s1, 0, s10
	s_delay_alu instid0(VALU_DEP_1) | instskip(SKIP_2) | instid1(VALU_DEP_1)
	v_rcp_iflag_f32_e32 v3, v3
	s_waitcnt_depctr 0xfff
	v_mul_f32_e32 v3, 0x4f7ffffe, v3
	v_cvt_u32_f32_e32 v3, v3
	s_delay_alu instid0(VALU_DEP_1) | instskip(NEXT) | instid1(VALU_DEP_1)
	v_mul_lo_u32 v4, s1, v3
	v_mul_hi_u32 v4, v3, v4
	s_delay_alu instid0(VALU_DEP_1) | instskip(NEXT) | instid1(VALU_DEP_1)
	v_add_nc_u32_e32 v3, v3, v4
	v_mul_hi_u32 v3, v2, v3
	s_delay_alu instid0(VALU_DEP_1) | instskip(SKIP_1) | instid1(VALU_DEP_2)
	v_mul_lo_u32 v4, v3, s10
	v_add_nc_u32_e32 v5, 1, v3
	v_sub_nc_u32_e32 v4, v2, v4
	s_delay_alu instid0(VALU_DEP_1) | instskip(SKIP_1) | instid1(VALU_DEP_2)
	v_subrev_nc_u32_e32 v6, s10, v4
	v_cmp_le_u32_e32 vcc_lo, s10, v4
	v_dual_cndmask_b32 v4, v4, v6 :: v_dual_cndmask_b32 v3, v3, v5
	s_delay_alu instid0(VALU_DEP_1) | instskip(NEXT) | instid1(VALU_DEP_2)
	v_cmp_le_u32_e32 vcc_lo, s10, v4
	v_add_nc_u32_e32 v5, 1, v3
	s_delay_alu instid0(VALU_DEP_1)
	v_cndmask_b32_e32 v4, v3, v5, vcc_lo
.LBB90_9:
	s_or_b32 exec_lo, exec_lo, s0
	s_mov_b32 s0, 0x19660d
	s_delay_alu instid0(SALU_CYCLE_1) | instskip(NEXT) | instid1(VALU_DEP_1)
	v_mad_u64_u32 v[5:6], null, v0, s0, 0x3c6ef35f
	v_mov_b32_e32 v3, v6
	s_delay_alu instid0(VALU_DEP_1) | instskip(SKIP_1) | instid1(VALU_DEP_2)
	v_mad_u64_u32 v[6:7], null, 0x19660d, v1, v[3:4]
	v_lshlrev_b64 v[0:1], 2, v[0:1]
	v_lshlrev_b64 v[7:8], 13, v[5:6]
	s_delay_alu instid0(VALU_DEP_1) | instskip(NEXT) | instid1(VALU_DEP_2)
	v_xor_b32_e32 v6, v8, v6
	v_xor_b32_e32 v5, v7, v5
	s_delay_alu instid0(VALU_DEP_1) | instskip(NEXT) | instid1(VALU_DEP_1)
	v_lshrrev_b64 v[7:8], 17, v[5:6]
	v_xor_b32_e32 v6, v8, v6
	s_delay_alu instid0(VALU_DEP_2) | instskip(NEXT) | instid1(VALU_DEP_1)
	v_xor_b32_e32 v5, v7, v5
	v_lshlrev_b64 v[7:8], 5, v[5:6]
	s_delay_alu instid0(VALU_DEP_1) | instskip(NEXT) | instid1(VALU_DEP_2)
	v_xor_b32_e32 v6, v8, v6
	v_xor_b32_e32 v5, v7, v5
	s_delay_alu instid0(VALU_DEP_1) | instskip(NEXT) | instid1(VALU_DEP_1)
	v_lshlrev_b64 v[7:8], 13, v[5:6]
	v_xor_b32_e32 v6, v8, v6
	s_delay_alu instid0(VALU_DEP_2) | instskip(NEXT) | instid1(VALU_DEP_1)
	v_xor_b32_e32 v5, v7, v5
	v_lshrrev_b64 v[7:8], 17, v[5:6]
	s_delay_alu instid0(VALU_DEP_1) | instskip(NEXT) | instid1(VALU_DEP_2)
	v_xor_b32_e32 v6, v8, v6
	v_xor_b32_e32 v5, v7, v5
	s_delay_alu instid0(VALU_DEP_1) | instskip(NEXT) | instid1(VALU_DEP_1)
	v_lshlrev_b64 v[7:8], 5, v[5:6]
	v_xor_b32_e32 v6, v8, v6
	s_delay_alu instid0(VALU_DEP_2) | instskip(NEXT) | instid1(VALU_DEP_1)
	v_xor_b32_e32 v5, v7, v5
	v_lshlrev_b64 v[7:8], 13, v[5:6]
	s_delay_alu instid0(VALU_DEP_1) | instskip(NEXT) | instid1(VALU_DEP_2)
	v_xor_b32_e32 v3, v8, v6
	v_xor_b32_e32 v5, v7, v5
	v_mul_lo_u32 v6, v4, s10
	s_delay_alu instid0(VALU_DEP_2) | instskip(NEXT) | instid1(VALU_DEP_2)
	v_alignbit_b32 v3, v3, v5, 17
	v_sub_nc_u32_e32 v2, v2, v6
	s_delay_alu instid0(VALU_DEP_2) | instskip(NEXT) | instid1(VALU_DEP_2)
	v_xor_b32_e32 v3, v3, v5
	v_xor_b32_e32 v2, v2, v4
	s_delay_alu instid0(VALU_DEP_2) | instskip(NEXT) | instid1(VALU_DEP_2)
	v_lshlrev_b32_e32 v5, 5, v3
	v_and_b32_e32 v2, 1, v2
	s_delay_alu instid0(VALU_DEP_2) | instskip(NEXT) | instid1(VALU_DEP_2)
	v_xor_b32_e32 v3, v5, v3
	v_cmp_eq_u32_e32 vcc_lo, 0, v2
	s_delay_alu instid0(VALU_DEP_2) | instskip(NEXT) | instid1(VALU_DEP_1)
	v_mul_hi_u32 v5, 0xcccccccd, v3
	v_lshrrev_b32_e32 v5, 3, v5
	s_delay_alu instid0(VALU_DEP_1) | instskip(NEXT) | instid1(VALU_DEP_1)
	v_mul_lo_u32 v5, v5, 10
	v_sub_nc_u32_e32 v3, v3, v5
	s_delay_alu instid0(VALU_DEP_1) | instskip(SKIP_1) | instid1(VALU_DEP_1)
	v_add_nc_u32_e32 v4, 1, v3
	v_not_b32_e32 v3, v3
	v_cndmask_b32_e32 v2, v4, v3, vcc_lo
	v_add_co_u32 v0, vcc_lo, s4, v0
	v_add_co_ci_u32_e32 v1, vcc_lo, s5, v1, vcc_lo
	global_store_b32 v[0:1], v2, off
.LBB90_10:
	s_nop 0
	s_sendmsg sendmsg(MSG_DEALLOC_VGPRS)
	s_endpgm
	.section	.rodata,"a",@progbits
	.p2align	6, 0x0
	.amdhsa_kernel _Z11fill_kernelIiZ21hipblaslt_init_deviceIiEv8ABC_dims24hipblaslt_initializationbPT_mmmmmEUlmE1_EvS4_mmT0_
		.amdhsa_group_segment_fixed_size 0
		.amdhsa_private_segment_fixed_size 0
		.amdhsa_kernarg_size 296
		.amdhsa_user_sgpr_count 15
		.amdhsa_user_sgpr_dispatch_ptr 0
		.amdhsa_user_sgpr_queue_ptr 0
		.amdhsa_user_sgpr_kernarg_segment_ptr 1
		.amdhsa_user_sgpr_dispatch_id 0
		.amdhsa_user_sgpr_private_segment_size 0
		.amdhsa_wavefront_size32 1
		.amdhsa_uses_dynamic_stack 0
		.amdhsa_enable_private_segment 0
		.amdhsa_system_sgpr_workgroup_id_x 1
		.amdhsa_system_sgpr_workgroup_id_y 0
		.amdhsa_system_sgpr_workgroup_id_z 0
		.amdhsa_system_sgpr_workgroup_info 0
		.amdhsa_system_vgpr_workitem_id 0
		.amdhsa_next_free_vgpr 13
		.amdhsa_next_free_sgpr 16
		.amdhsa_reserve_vcc 1
		.amdhsa_float_round_mode_32 0
		.amdhsa_float_round_mode_16_64 0
		.amdhsa_float_denorm_mode_32 3
		.amdhsa_float_denorm_mode_16_64 3
		.amdhsa_dx10_clamp 1
		.amdhsa_ieee_mode 1
		.amdhsa_fp16_overflow 0
		.amdhsa_workgroup_processor_mode 1
		.amdhsa_memory_ordered 1
		.amdhsa_forward_progress 0
		.amdhsa_shared_vgpr_count 0
		.amdhsa_exception_fp_ieee_invalid_op 0
		.amdhsa_exception_fp_denorm_src 0
		.amdhsa_exception_fp_ieee_div_zero 0
		.amdhsa_exception_fp_ieee_overflow 0
		.amdhsa_exception_fp_ieee_underflow 0
		.amdhsa_exception_fp_ieee_inexact 0
		.amdhsa_exception_int_div_zero 0
	.end_amdhsa_kernel
	.section	.text._Z11fill_kernelIiZ21hipblaslt_init_deviceIiEv8ABC_dims24hipblaslt_initializationbPT_mmmmmEUlmE1_EvS4_mmT0_,"axG",@progbits,_Z11fill_kernelIiZ21hipblaslt_init_deviceIiEv8ABC_dims24hipblaslt_initializationbPT_mmmmmEUlmE1_EvS4_mmT0_,comdat
.Lfunc_end90:
	.size	_Z11fill_kernelIiZ21hipblaslt_init_deviceIiEv8ABC_dims24hipblaslt_initializationbPT_mmmmmEUlmE1_EvS4_mmT0_, .Lfunc_end90-_Z11fill_kernelIiZ21hipblaslt_init_deviceIiEv8ABC_dims24hipblaslt_initializationbPT_mmmmmEUlmE1_EvS4_mmT0_
                                        ; -- End function
	.section	.AMDGPU.csdata,"",@progbits
; Kernel info:
; codeLenInByte = 2232
; NumSgprs: 18
; NumVgprs: 13
; ScratchSize: 0
; MemoryBound: 0
; FloatMode: 240
; IeeeMode: 1
; LDSByteSize: 0 bytes/workgroup (compile time only)
; SGPRBlocks: 2
; VGPRBlocks: 1
; NumSGPRsForWavesPerEU: 18
; NumVGPRsForWavesPerEU: 13
; Occupancy: 16
; WaveLimiterHint : 0
; COMPUTE_PGM_RSRC2:SCRATCH_EN: 0
; COMPUTE_PGM_RSRC2:USER_SGPR: 15
; COMPUTE_PGM_RSRC2:TRAP_HANDLER: 0
; COMPUTE_PGM_RSRC2:TGID_X_EN: 1
; COMPUTE_PGM_RSRC2:TGID_Y_EN: 0
; COMPUTE_PGM_RSRC2:TGID_Z_EN: 0
; COMPUTE_PGM_RSRC2:TIDIG_COMP_CNT: 0
	.section	.text._Z11fill_kernelIiZ21hipblaslt_init_deviceIiEv8ABC_dims24hipblaslt_initializationbPT_mmmmmEUlmE2_EvS4_mmT0_,"axG",@progbits,_Z11fill_kernelIiZ21hipblaslt_init_deviceIiEv8ABC_dims24hipblaslt_initializationbPT_mmmmmEUlmE2_EvS4_mmT0_,comdat
	.protected	_Z11fill_kernelIiZ21hipblaslt_init_deviceIiEv8ABC_dims24hipblaslt_initializationbPT_mmmmmEUlmE2_EvS4_mmT0_ ; -- Begin function _Z11fill_kernelIiZ21hipblaslt_init_deviceIiEv8ABC_dims24hipblaslt_initializationbPT_mmmmmEUlmE2_EvS4_mmT0_
	.globl	_Z11fill_kernelIiZ21hipblaslt_init_deviceIiEv8ABC_dims24hipblaslt_initializationbPT_mmmmmEUlmE2_EvS4_mmT0_
	.p2align	8
	.type	_Z11fill_kernelIiZ21hipblaslt_init_deviceIiEv8ABC_dims24hipblaslt_initializationbPT_mmmmmEUlmE2_EvS4_mmT0_,@function
_Z11fill_kernelIiZ21hipblaslt_init_deviceIiEv8ABC_dims24hipblaslt_initializationbPT_mmmmmEUlmE2_EvS4_mmT0_: ; @_Z11fill_kernelIiZ21hipblaslt_init_deviceIiEv8ABC_dims24hipblaslt_initializationbPT_mmmmmEUlmE2_EvS4_mmT0_
; %bb.0:
	s_clause 0x1
	s_load_b32 s2, s[0:1], 0x44
	s_load_b128 s[16:19], s[0:1], 0x0
	s_waitcnt lgkmcnt(0)
	s_and_b32 s2, s2, 0xffff
	s_delay_alu instid0(SALU_CYCLE_1) | instskip(SKIP_2) | instid1(VALU_DEP_1)
	v_mad_u64_u32 v[1:2], null, s15, s2, v[0:1]
	v_mov_b32_e32 v2, 0
	s_mov_b32 s2, exec_lo
	v_cmpx_gt_u64_e64 s[18:19], v[1:2]
	s_cbranch_execz .LBB91_14
; %bb.1:
	s_clause 0x1
	s_load_b64 s[2:3], s[0:1], 0x10
	s_load_b256 s[4:11], s[0:1], 0x18
	s_waitcnt lgkmcnt(0)
	v_add_co_u32 v0, s0, v1, s2
	s_delay_alu instid0(VALU_DEP_1) | instskip(NEXT) | instid1(VALU_DEP_1)
	v_add_co_ci_u32_e64 v1, null, 0, s3, s0
	v_or_b32_e32 v3, s9, v1
	s_delay_alu instid0(VALU_DEP_1) | instskip(SKIP_1) | instid1(SALU_CYCLE_1)
	v_cmp_ne_u64_e32 vcc_lo, 0, v[2:3]
                                        ; implicit-def: $vgpr2_vgpr3
	s_and_saveexec_b32 s0, vcc_lo
	s_xor_b32 s1, exec_lo, s0
	s_cbranch_execz .LBB91_3
; %bb.2:
	v_cvt_f32_u32_e32 v2, s8
	v_cvt_f32_u32_e32 v3, s9
	s_sub_u32 s0, 0, s8
	s_subb_u32 s2, 0, s9
	s_delay_alu instid0(VALU_DEP_1) | instskip(NEXT) | instid1(VALU_DEP_1)
	v_fmamk_f32 v2, v3, 0x4f800000, v2
	v_rcp_f32_e32 v2, v2
	s_waitcnt_depctr 0xfff
	v_mul_f32_e32 v2, 0x5f7ffffc, v2
	s_delay_alu instid0(VALU_DEP_1) | instskip(NEXT) | instid1(VALU_DEP_1)
	v_mul_f32_e32 v3, 0x2f800000, v2
	v_trunc_f32_e32 v3, v3
	s_delay_alu instid0(VALU_DEP_1) | instskip(SKIP_1) | instid1(VALU_DEP_2)
	v_fmamk_f32 v2, v3, 0xcf800000, v2
	v_cvt_u32_f32_e32 v3, v3
	v_cvt_u32_f32_e32 v2, v2
	s_delay_alu instid0(VALU_DEP_2) | instskip(NEXT) | instid1(VALU_DEP_2)
	v_mul_lo_u32 v4, s0, v3
	v_mul_hi_u32 v5, s0, v2
	v_mul_lo_u32 v6, s2, v2
	s_delay_alu instid0(VALU_DEP_2) | instskip(SKIP_1) | instid1(VALU_DEP_2)
	v_add_nc_u32_e32 v4, v5, v4
	v_mul_lo_u32 v5, s0, v2
	v_add_nc_u32_e32 v4, v4, v6
	s_delay_alu instid0(VALU_DEP_2) | instskip(NEXT) | instid1(VALU_DEP_2)
	v_mul_hi_u32 v6, v2, v5
	v_mul_lo_u32 v7, v2, v4
	v_mul_hi_u32 v8, v2, v4
	v_mul_hi_u32 v9, v3, v5
	v_mul_lo_u32 v5, v3, v5
	v_mul_hi_u32 v10, v3, v4
	v_mul_lo_u32 v4, v3, v4
	v_add_co_u32 v6, vcc_lo, v6, v7
	v_add_co_ci_u32_e32 v7, vcc_lo, 0, v8, vcc_lo
	s_delay_alu instid0(VALU_DEP_2) | instskip(NEXT) | instid1(VALU_DEP_2)
	v_add_co_u32 v5, vcc_lo, v6, v5
	v_add_co_ci_u32_e32 v5, vcc_lo, v7, v9, vcc_lo
	v_add_co_ci_u32_e32 v6, vcc_lo, 0, v10, vcc_lo
	s_delay_alu instid0(VALU_DEP_2) | instskip(NEXT) | instid1(VALU_DEP_2)
	v_add_co_u32 v4, vcc_lo, v5, v4
	v_add_co_ci_u32_e32 v5, vcc_lo, 0, v6, vcc_lo
	s_delay_alu instid0(VALU_DEP_2) | instskip(NEXT) | instid1(VALU_DEP_2)
	v_add_co_u32 v2, vcc_lo, v2, v4
	v_add_co_ci_u32_e32 v3, vcc_lo, v3, v5, vcc_lo
	s_delay_alu instid0(VALU_DEP_2) | instskip(SKIP_1) | instid1(VALU_DEP_3)
	v_mul_hi_u32 v4, s0, v2
	v_mul_lo_u32 v6, s2, v2
	v_mul_lo_u32 v5, s0, v3
	s_delay_alu instid0(VALU_DEP_1) | instskip(SKIP_1) | instid1(VALU_DEP_2)
	v_add_nc_u32_e32 v4, v4, v5
	v_mul_lo_u32 v5, s0, v2
	v_add_nc_u32_e32 v4, v4, v6
	s_delay_alu instid0(VALU_DEP_2) | instskip(NEXT) | instid1(VALU_DEP_2)
	v_mul_hi_u32 v6, v2, v5
	v_mul_lo_u32 v7, v2, v4
	v_mul_hi_u32 v8, v2, v4
	v_mul_hi_u32 v9, v3, v5
	v_mul_lo_u32 v5, v3, v5
	v_mul_hi_u32 v10, v3, v4
	v_mul_lo_u32 v4, v3, v4
	v_add_co_u32 v6, vcc_lo, v6, v7
	v_add_co_ci_u32_e32 v7, vcc_lo, 0, v8, vcc_lo
	s_delay_alu instid0(VALU_DEP_2) | instskip(NEXT) | instid1(VALU_DEP_2)
	v_add_co_u32 v5, vcc_lo, v6, v5
	v_add_co_ci_u32_e32 v5, vcc_lo, v7, v9, vcc_lo
	v_add_co_ci_u32_e32 v6, vcc_lo, 0, v10, vcc_lo
	s_delay_alu instid0(VALU_DEP_2) | instskip(NEXT) | instid1(VALU_DEP_2)
	v_add_co_u32 v4, vcc_lo, v5, v4
	v_add_co_ci_u32_e32 v5, vcc_lo, 0, v6, vcc_lo
	s_delay_alu instid0(VALU_DEP_2) | instskip(NEXT) | instid1(VALU_DEP_2)
	v_add_co_u32 v6, vcc_lo, v2, v4
	v_add_co_ci_u32_e32 v8, vcc_lo, v3, v5, vcc_lo
	s_delay_alu instid0(VALU_DEP_2) | instskip(SKIP_1) | instid1(VALU_DEP_3)
	v_mul_hi_u32 v9, v0, v6
	v_mad_u64_u32 v[4:5], null, v1, v6, 0
	v_mad_u64_u32 v[2:3], null, v0, v8, 0
	;; [unrolled: 1-line block ×3, first 2 shown]
	s_delay_alu instid0(VALU_DEP_2) | instskip(NEXT) | instid1(VALU_DEP_3)
	v_add_co_u32 v2, vcc_lo, v9, v2
	v_add_co_ci_u32_e32 v3, vcc_lo, 0, v3, vcc_lo
	s_delay_alu instid0(VALU_DEP_2) | instskip(NEXT) | instid1(VALU_DEP_2)
	v_add_co_u32 v2, vcc_lo, v2, v4
	v_add_co_ci_u32_e32 v2, vcc_lo, v3, v5, vcc_lo
	v_add_co_ci_u32_e32 v3, vcc_lo, 0, v7, vcc_lo
	s_delay_alu instid0(VALU_DEP_2) | instskip(NEXT) | instid1(VALU_DEP_2)
	v_add_co_u32 v4, vcc_lo, v2, v6
	v_add_co_ci_u32_e32 v5, vcc_lo, 0, v3, vcc_lo
	s_delay_alu instid0(VALU_DEP_2) | instskip(SKIP_1) | instid1(VALU_DEP_3)
	v_mul_lo_u32 v6, s9, v4
	v_mad_u64_u32 v[2:3], null, s8, v4, 0
	v_mul_lo_u32 v7, s8, v5
	s_delay_alu instid0(VALU_DEP_2) | instskip(NEXT) | instid1(VALU_DEP_2)
	v_sub_co_u32 v2, vcc_lo, v0, v2
	v_add3_u32 v3, v3, v7, v6
	s_delay_alu instid0(VALU_DEP_1) | instskip(NEXT) | instid1(VALU_DEP_1)
	v_sub_nc_u32_e32 v6, v1, v3
	v_subrev_co_ci_u32_e64 v6, s0, s9, v6, vcc_lo
	v_add_co_u32 v7, s0, v4, 2
	s_delay_alu instid0(VALU_DEP_1) | instskip(SKIP_3) | instid1(VALU_DEP_3)
	v_add_co_ci_u32_e64 v8, s0, 0, v5, s0
	v_sub_co_u32 v9, s0, v2, s8
	v_sub_co_ci_u32_e32 v3, vcc_lo, v1, v3, vcc_lo
	v_subrev_co_ci_u32_e64 v6, s0, 0, v6, s0
	v_cmp_le_u32_e32 vcc_lo, s8, v9
	s_delay_alu instid0(VALU_DEP_3) | instskip(SKIP_1) | instid1(VALU_DEP_4)
	v_cmp_eq_u32_e64 s0, s9, v3
	v_cndmask_b32_e64 v9, 0, -1, vcc_lo
	v_cmp_le_u32_e32 vcc_lo, s9, v6
	v_cndmask_b32_e64 v10, 0, -1, vcc_lo
	v_cmp_le_u32_e32 vcc_lo, s8, v2
	v_cndmask_b32_e64 v2, 0, -1, vcc_lo
	v_cmp_le_u32_e32 vcc_lo, s9, v3
	v_cndmask_b32_e64 v11, 0, -1, vcc_lo
	v_cmp_eq_u32_e32 vcc_lo, s9, v6
	s_delay_alu instid0(VALU_DEP_2) | instskip(SKIP_3) | instid1(VALU_DEP_3)
	v_cndmask_b32_e64 v2, v11, v2, s0
	v_cndmask_b32_e32 v6, v10, v9, vcc_lo
	v_add_co_u32 v9, vcc_lo, v4, 1
	v_add_co_ci_u32_e32 v10, vcc_lo, 0, v5, vcc_lo
	v_cmp_ne_u32_e32 vcc_lo, 0, v6
	s_delay_alu instid0(VALU_DEP_2) | instskip(SKIP_1) | instid1(VALU_DEP_2)
	v_dual_cndmask_b32 v3, v10, v8 :: v_dual_cndmask_b32 v6, v9, v7
	v_cmp_ne_u32_e32 vcc_lo, 0, v2
	v_dual_cndmask_b32 v3, v5, v3 :: v_dual_cndmask_b32 v2, v4, v6
.LBB91_3:
	s_and_not1_saveexec_b32 s0, s1
	s_cbranch_execz .LBB91_5
; %bb.4:
	v_cvt_f32_u32_e32 v2, s8
	s_sub_i32 s1, 0, s8
	s_delay_alu instid0(VALU_DEP_1) | instskip(SKIP_2) | instid1(VALU_DEP_1)
	v_rcp_iflag_f32_e32 v2, v2
	s_waitcnt_depctr 0xfff
	v_mul_f32_e32 v2, 0x4f7ffffe, v2
	v_cvt_u32_f32_e32 v2, v2
	s_delay_alu instid0(VALU_DEP_1) | instskip(NEXT) | instid1(VALU_DEP_1)
	v_mul_lo_u32 v3, s1, v2
	v_mul_hi_u32 v3, v2, v3
	s_delay_alu instid0(VALU_DEP_1) | instskip(NEXT) | instid1(VALU_DEP_1)
	v_add_nc_u32_e32 v2, v2, v3
	v_mul_hi_u32 v2, v0, v2
	s_delay_alu instid0(VALU_DEP_1) | instskip(SKIP_1) | instid1(VALU_DEP_2)
	v_mul_lo_u32 v3, v2, s8
	v_add_nc_u32_e32 v4, 1, v2
	v_sub_nc_u32_e32 v3, v0, v3
	s_delay_alu instid0(VALU_DEP_1) | instskip(SKIP_1) | instid1(VALU_DEP_2)
	v_subrev_nc_u32_e32 v5, s8, v3
	v_cmp_le_u32_e32 vcc_lo, s8, v3
	v_dual_cndmask_b32 v3, v3, v5 :: v_dual_cndmask_b32 v2, v2, v4
	s_delay_alu instid0(VALU_DEP_1) | instskip(NEXT) | instid1(VALU_DEP_2)
	v_cmp_le_u32_e32 vcc_lo, s8, v3
	v_dual_mov_b32 v3, 0 :: v_dual_add_nc_u32 v4, 1, v2
	s_delay_alu instid0(VALU_DEP_1)
	v_cndmask_b32_e32 v2, v2, v4, vcc_lo
.LBB91_5:
	s_or_b32 exec_lo, exec_lo, s0
	s_delay_alu instid0(VALU_DEP_1) | instskip(NEXT) | instid1(VALU_DEP_2)
	v_mul_lo_u32 v6, v3, s8
	v_mul_lo_u32 v7, v2, s9
	v_mad_u64_u32 v[4:5], null, v2, s8, 0
	s_delay_alu instid0(VALU_DEP_1) | instskip(NEXT) | instid1(VALU_DEP_2)
	v_add3_u32 v5, v5, v7, v6
	v_sub_co_u32 v6, vcc_lo, v0, v4
	v_mov_b32_e32 v4, 0
	s_delay_alu instid0(VALU_DEP_3) | instskip(NEXT) | instid1(VALU_DEP_1)
	v_sub_co_ci_u32_e32 v7, vcc_lo, v1, v5, vcc_lo
	v_or_b32_e32 v5, s11, v7
	s_delay_alu instid0(VALU_DEP_1) | instskip(SKIP_1) | instid1(SALU_CYCLE_1)
	v_cmp_ne_u64_e32 vcc_lo, 0, v[4:5]
                                        ; implicit-def: $vgpr4_vgpr5
	s_and_saveexec_b32 s0, vcc_lo
	s_xor_b32 s1, exec_lo, s0
	s_cbranch_execz .LBB91_7
; %bb.6:
	v_cvt_f32_u32_e32 v4, s10
	v_cvt_f32_u32_e32 v5, s11
	s_sub_u32 s0, 0, s10
	s_subb_u32 s2, 0, s11
	s_delay_alu instid0(VALU_DEP_1) | instskip(NEXT) | instid1(VALU_DEP_1)
	v_fmamk_f32 v4, v5, 0x4f800000, v4
	v_rcp_f32_e32 v4, v4
	s_waitcnt_depctr 0xfff
	v_mul_f32_e32 v4, 0x5f7ffffc, v4
	s_delay_alu instid0(VALU_DEP_1) | instskip(NEXT) | instid1(VALU_DEP_1)
	v_mul_f32_e32 v5, 0x2f800000, v4
	v_trunc_f32_e32 v5, v5
	s_delay_alu instid0(VALU_DEP_1) | instskip(SKIP_1) | instid1(VALU_DEP_2)
	v_fmamk_f32 v4, v5, 0xcf800000, v4
	v_cvt_u32_f32_e32 v5, v5
	v_cvt_u32_f32_e32 v4, v4
	s_delay_alu instid0(VALU_DEP_2) | instskip(NEXT) | instid1(VALU_DEP_2)
	v_mul_lo_u32 v8, s0, v5
	v_mul_hi_u32 v9, s0, v4
	v_mul_lo_u32 v10, s2, v4
	s_delay_alu instid0(VALU_DEP_2) | instskip(SKIP_1) | instid1(VALU_DEP_2)
	v_add_nc_u32_e32 v8, v9, v8
	v_mul_lo_u32 v9, s0, v4
	v_add_nc_u32_e32 v8, v8, v10
	s_delay_alu instid0(VALU_DEP_2) | instskip(NEXT) | instid1(VALU_DEP_2)
	v_mul_hi_u32 v10, v4, v9
	v_mul_lo_u32 v11, v4, v8
	v_mul_hi_u32 v12, v4, v8
	v_mul_hi_u32 v13, v5, v9
	v_mul_lo_u32 v9, v5, v9
	v_mul_hi_u32 v14, v5, v8
	v_mul_lo_u32 v8, v5, v8
	v_add_co_u32 v10, vcc_lo, v10, v11
	v_add_co_ci_u32_e32 v11, vcc_lo, 0, v12, vcc_lo
	s_delay_alu instid0(VALU_DEP_2) | instskip(NEXT) | instid1(VALU_DEP_2)
	v_add_co_u32 v9, vcc_lo, v10, v9
	v_add_co_ci_u32_e32 v9, vcc_lo, v11, v13, vcc_lo
	v_add_co_ci_u32_e32 v10, vcc_lo, 0, v14, vcc_lo
	s_delay_alu instid0(VALU_DEP_2) | instskip(NEXT) | instid1(VALU_DEP_2)
	v_add_co_u32 v8, vcc_lo, v9, v8
	v_add_co_ci_u32_e32 v9, vcc_lo, 0, v10, vcc_lo
	s_delay_alu instid0(VALU_DEP_2) | instskip(NEXT) | instid1(VALU_DEP_2)
	v_add_co_u32 v4, vcc_lo, v4, v8
	v_add_co_ci_u32_e32 v5, vcc_lo, v5, v9, vcc_lo
	s_delay_alu instid0(VALU_DEP_2) | instskip(SKIP_1) | instid1(VALU_DEP_3)
	v_mul_hi_u32 v8, s0, v4
	v_mul_lo_u32 v10, s2, v4
	v_mul_lo_u32 v9, s0, v5
	s_delay_alu instid0(VALU_DEP_1) | instskip(SKIP_1) | instid1(VALU_DEP_2)
	v_add_nc_u32_e32 v8, v8, v9
	v_mul_lo_u32 v9, s0, v4
	v_add_nc_u32_e32 v8, v8, v10
	s_delay_alu instid0(VALU_DEP_2) | instskip(NEXT) | instid1(VALU_DEP_2)
	v_mul_hi_u32 v10, v4, v9
	v_mul_lo_u32 v11, v4, v8
	v_mul_hi_u32 v12, v4, v8
	v_mul_hi_u32 v13, v5, v9
	v_mul_lo_u32 v9, v5, v9
	v_mul_hi_u32 v14, v5, v8
	v_mul_lo_u32 v8, v5, v8
	v_add_co_u32 v10, vcc_lo, v10, v11
	v_add_co_ci_u32_e32 v11, vcc_lo, 0, v12, vcc_lo
	s_delay_alu instid0(VALU_DEP_2) | instskip(NEXT) | instid1(VALU_DEP_2)
	v_add_co_u32 v9, vcc_lo, v10, v9
	v_add_co_ci_u32_e32 v9, vcc_lo, v11, v13, vcc_lo
	v_add_co_ci_u32_e32 v10, vcc_lo, 0, v14, vcc_lo
	s_delay_alu instid0(VALU_DEP_2) | instskip(NEXT) | instid1(VALU_DEP_2)
	v_add_co_u32 v8, vcc_lo, v9, v8
	v_add_co_ci_u32_e32 v9, vcc_lo, 0, v10, vcc_lo
	s_delay_alu instid0(VALU_DEP_2) | instskip(NEXT) | instid1(VALU_DEP_2)
	v_add_co_u32 v10, vcc_lo, v4, v8
	v_add_co_ci_u32_e32 v12, vcc_lo, v5, v9, vcc_lo
	s_delay_alu instid0(VALU_DEP_2) | instskip(SKIP_1) | instid1(VALU_DEP_3)
	v_mul_hi_u32 v13, v6, v10
	v_mad_u64_u32 v[8:9], null, v7, v10, 0
	v_mad_u64_u32 v[4:5], null, v6, v12, 0
	;; [unrolled: 1-line block ×3, first 2 shown]
	s_delay_alu instid0(VALU_DEP_2) | instskip(NEXT) | instid1(VALU_DEP_3)
	v_add_co_u32 v4, vcc_lo, v13, v4
	v_add_co_ci_u32_e32 v5, vcc_lo, 0, v5, vcc_lo
	s_delay_alu instid0(VALU_DEP_2) | instskip(NEXT) | instid1(VALU_DEP_2)
	v_add_co_u32 v4, vcc_lo, v4, v8
	v_add_co_ci_u32_e32 v4, vcc_lo, v5, v9, vcc_lo
	v_add_co_ci_u32_e32 v5, vcc_lo, 0, v11, vcc_lo
	s_delay_alu instid0(VALU_DEP_2) | instskip(NEXT) | instid1(VALU_DEP_2)
	v_add_co_u32 v8, vcc_lo, v4, v10
	v_add_co_ci_u32_e32 v9, vcc_lo, 0, v5, vcc_lo
	s_delay_alu instid0(VALU_DEP_2) | instskip(SKIP_1) | instid1(VALU_DEP_3)
	v_mul_lo_u32 v10, s11, v8
	v_mad_u64_u32 v[4:5], null, s10, v8, 0
	v_mul_lo_u32 v11, s10, v9
	s_delay_alu instid0(VALU_DEP_2) | instskip(NEXT) | instid1(VALU_DEP_2)
	v_sub_co_u32 v4, vcc_lo, v6, v4
	v_add3_u32 v5, v5, v11, v10
	s_delay_alu instid0(VALU_DEP_1) | instskip(NEXT) | instid1(VALU_DEP_1)
	v_sub_nc_u32_e32 v10, v7, v5
	v_subrev_co_ci_u32_e64 v10, s0, s11, v10, vcc_lo
	v_add_co_u32 v11, s0, v8, 2
	s_delay_alu instid0(VALU_DEP_1) | instskip(SKIP_3) | instid1(VALU_DEP_3)
	v_add_co_ci_u32_e64 v12, s0, 0, v9, s0
	v_sub_co_u32 v13, s0, v4, s10
	v_sub_co_ci_u32_e32 v5, vcc_lo, v7, v5, vcc_lo
	v_subrev_co_ci_u32_e64 v10, s0, 0, v10, s0
	v_cmp_le_u32_e32 vcc_lo, s10, v13
	s_delay_alu instid0(VALU_DEP_3) | instskip(SKIP_1) | instid1(VALU_DEP_4)
	v_cmp_eq_u32_e64 s0, s11, v5
	v_cndmask_b32_e64 v13, 0, -1, vcc_lo
	v_cmp_le_u32_e32 vcc_lo, s11, v10
	v_cndmask_b32_e64 v14, 0, -1, vcc_lo
	v_cmp_le_u32_e32 vcc_lo, s10, v4
	;; [unrolled: 2-line block ×3, first 2 shown]
	v_cndmask_b32_e64 v15, 0, -1, vcc_lo
	v_cmp_eq_u32_e32 vcc_lo, s11, v10
	s_delay_alu instid0(VALU_DEP_2) | instskip(SKIP_3) | instid1(VALU_DEP_3)
	v_cndmask_b32_e64 v4, v15, v4, s0
	v_cndmask_b32_e32 v10, v14, v13, vcc_lo
	v_add_co_u32 v13, vcc_lo, v8, 1
	v_add_co_ci_u32_e32 v14, vcc_lo, 0, v9, vcc_lo
	v_cmp_ne_u32_e32 vcc_lo, 0, v10
	s_delay_alu instid0(VALU_DEP_2) | instskip(SKIP_1) | instid1(VALU_DEP_2)
	v_dual_cndmask_b32 v5, v14, v12 :: v_dual_cndmask_b32 v10, v13, v11
	v_cmp_ne_u32_e32 vcc_lo, 0, v4
	v_dual_cndmask_b32 v5, v9, v5 :: v_dual_cndmask_b32 v4, v8, v10
.LBB91_7:
	s_and_not1_saveexec_b32 s0, s1
	s_cbranch_execz .LBB91_9
; %bb.8:
	v_cvt_f32_u32_e32 v4, s10
	s_sub_i32 s1, 0, s10
	s_delay_alu instid0(VALU_DEP_1) | instskip(SKIP_2) | instid1(VALU_DEP_1)
	v_rcp_iflag_f32_e32 v4, v4
	s_waitcnt_depctr 0xfff
	v_mul_f32_e32 v4, 0x4f7ffffe, v4
	v_cvt_u32_f32_e32 v4, v4
	s_delay_alu instid0(VALU_DEP_1) | instskip(NEXT) | instid1(VALU_DEP_1)
	v_mul_lo_u32 v5, s1, v4
	v_mul_hi_u32 v5, v4, v5
	s_delay_alu instid0(VALU_DEP_1) | instskip(NEXT) | instid1(VALU_DEP_1)
	v_add_nc_u32_e32 v4, v4, v5
	v_mul_hi_u32 v4, v6, v4
	s_delay_alu instid0(VALU_DEP_1) | instskip(SKIP_1) | instid1(VALU_DEP_2)
	v_mul_lo_u32 v5, v4, s10
	v_add_nc_u32_e32 v8, 1, v4
	v_sub_nc_u32_e32 v5, v6, v5
	s_delay_alu instid0(VALU_DEP_1) | instskip(SKIP_1) | instid1(VALU_DEP_2)
	v_subrev_nc_u32_e32 v9, s10, v5
	v_cmp_le_u32_e32 vcc_lo, s10, v5
	v_dual_cndmask_b32 v5, v5, v9 :: v_dual_cndmask_b32 v4, v4, v8
	s_delay_alu instid0(VALU_DEP_1) | instskip(NEXT) | instid1(VALU_DEP_2)
	v_cmp_le_u32_e32 vcc_lo, s10, v5
	v_dual_mov_b32 v5, 0 :: v_dual_add_nc_u32 v8, 1, v4
	s_delay_alu instid0(VALU_DEP_1)
	v_cndmask_b32_e32 v4, v4, v8, vcc_lo
.LBB91_9:
	s_or_b32 exec_lo, exec_lo, s0
	s_delay_alu instid0(VALU_DEP_1) | instskip(NEXT) | instid1(VALU_DEP_2)
	v_mul_lo_u32 v12, v5, s10
	v_mul_lo_u32 v13, v4, s11
	v_mad_u64_u32 v[8:9], null, v4, s10, 0
	v_mad_u64_u32 v[10:11], null, v2, s6, v[4:5]
	v_mul_lo_u32 v2, v2, s7
	v_mul_lo_u32 v3, v3, s6
	s_delay_alu instid0(VALU_DEP_4) | instskip(NEXT) | instid1(VALU_DEP_2)
	v_add3_u32 v4, v9, v13, v12
	v_add3_u32 v5, v3, v11, v2
	v_sub_co_u32 v2, vcc_lo, v6, v8
	s_delay_alu instid0(VALU_DEP_3) | instskip(SKIP_1) | instid1(VALU_DEP_4)
	v_sub_co_ci_u32_e32 v3, vcc_lo, v7, v4, vcc_lo
	v_mul_lo_u32 v6, v10, s5
	v_mul_lo_u32 v7, v5, s4
                                        ; implicit-def: $vgpr8
	s_delay_alu instid0(VALU_DEP_3) | instskip(NEXT) | instid1(VALU_DEP_1)
	v_mad_u64_u32 v[4:5], null, v10, s4, v[2:3]
	v_add3_u32 v5, v7, v5, v6
	s_delay_alu instid0(VALU_DEP_2) | instskip(NEXT) | instid1(VALU_DEP_2)
	v_cvt_f64_u32_e32 v[6:7], v4
	v_cvt_f64_u32_e32 v[2:3], v5
	v_cmp_lt_u64_e32 vcc_lo, 0x3fffffff, v[4:5]
                                        ; implicit-def: $vgpr4_vgpr5
	s_delay_alu instid0(VALU_DEP_2) | instskip(NEXT) | instid1(VALU_DEP_1)
	v_ldexp_f64 v[2:3], v[2:3], 32
	v_add_f64 v[2:3], v[2:3], v[6:7]
                                        ; implicit-def: $vgpr6_vgpr7
	s_and_saveexec_b32 s0, vcc_lo
	s_delay_alu instid0(SALU_CYCLE_1)
	s_xor_b32 s1, exec_lo, s0
	s_cbranch_execz .LBB91_11
; %bb.10:
	s_delay_alu instid0(VALU_DEP_1)
	v_trig_preop_f64 v[4:5], v[2:3], 0
	v_trig_preop_f64 v[6:7], v[2:3], 1
	;; [unrolled: 1-line block ×3, first 2 shown]
	v_mov_b32_e32 v24, 0
	s_mov_b32 s2, 0x54442d18
	s_mov_b32 s3, 0x3ff921fb
	;; [unrolled: 1-line block ×4, first 2 shown]
	s_delay_alu instid0(VALU_DEP_4) | instskip(NEXT) | instid1(VALU_DEP_4)
	v_mul_f64 v[8:9], v[4:5], v[2:3]
	v_mul_f64 v[10:11], v[6:7], v[2:3]
	s_delay_alu instid0(VALU_DEP_4) | instskip(NEXT) | instid1(VALU_DEP_3)
	v_mul_f64 v[22:23], v[16:17], v[2:3]
	v_fma_f64 v[4:5], v[4:5], v[2:3], -v[8:9]
	s_delay_alu instid0(VALU_DEP_3) | instskip(NEXT) | instid1(VALU_DEP_3)
	v_fma_f64 v[6:7], v[6:7], v[2:3], -v[10:11]
	v_fma_f64 v[16:17], v[16:17], v[2:3], -v[22:23]
	s_delay_alu instid0(VALU_DEP_3) | instskip(NEXT) | instid1(VALU_DEP_1)
	v_add_f64 v[12:13], v[10:11], v[4:5]
	v_add_f64 v[14:15], v[12:13], -v[10:11]
	v_add_f64 v[20:21], v[8:9], v[12:13]
	s_delay_alu instid0(VALU_DEP_2) | instskip(SKIP_1) | instid1(VALU_DEP_3)
	v_add_f64 v[18:19], v[12:13], -v[14:15]
	v_add_f64 v[4:5], v[4:5], -v[14:15]
	v_ldexp_f64 v[14:15], v[20:21], -2
	v_add_f64 v[8:9], v[20:21], -v[8:9]
	s_delay_alu instid0(VALU_DEP_4) | instskip(SKIP_1) | instid1(VALU_DEP_4)
	v_add_f64 v[10:11], v[10:11], -v[18:19]
	v_add_f64 v[18:19], v[22:23], v[6:7]
	v_cmp_neq_f64_e64 vcc_lo, 0x7ff00000, |v[14:15]|
	s_delay_alu instid0(VALU_DEP_4) | instskip(NEXT) | instid1(VALU_DEP_4)
	v_add_f64 v[8:9], v[12:13], -v[8:9]
	v_add_f64 v[4:5], v[4:5], v[10:11]
	v_fract_f64_e32 v[10:11], v[14:15]
	s_delay_alu instid0(VALU_DEP_2) | instskip(NEXT) | instid1(VALU_DEP_2)
	v_add_f64 v[12:13], v[18:19], v[4:5]
	v_dual_cndmask_b32 v11, 0, v11 :: v_dual_cndmask_b32 v10, 0, v10
	s_delay_alu instid0(VALU_DEP_1) | instskip(NEXT) | instid1(VALU_DEP_3)
	v_ldexp_f64 v[10:11], v[10:11], 2
	v_add_f64 v[14:15], v[8:9], v[12:13]
	s_delay_alu instid0(VALU_DEP_1) | instskip(SKIP_1) | instid1(VALU_DEP_2)
	v_add_f64 v[20:21], v[14:15], v[10:11]
	v_add_f64 v[8:9], v[14:15], -v[8:9]
	v_cmp_gt_f64_e32 vcc_lo, 0, v[20:21]
	v_add_f64 v[20:21], v[18:19], -v[22:23]
	s_delay_alu instid0(VALU_DEP_3) | instskip(SKIP_1) | instid1(VALU_DEP_3)
	v_add_f64 v[8:9], v[12:13], -v[8:9]
	v_cndmask_b32_e64 v25, 0, 0x40100000, vcc_lo
	v_add_f64 v[29:30], v[18:19], -v[20:21]
	v_add_f64 v[6:7], v[6:7], -v[20:21]
	s_delay_alu instid0(VALU_DEP_3) | instskip(SKIP_1) | instid1(VALU_DEP_4)
	v_add_f64 v[10:11], v[10:11], v[24:25]
	v_add_f64 v[25:26], v[12:13], -v[18:19]
	v_add_f64 v[20:21], v[22:23], -v[29:30]
	s_delay_alu instid0(VALU_DEP_3) | instskip(NEXT) | instid1(VALU_DEP_3)
	v_add_f64 v[27:28], v[14:15], v[10:11]
	v_add_f64 v[31:32], v[12:13], -v[25:26]
	v_add_f64 v[4:5], v[4:5], -v[25:26]
	s_delay_alu instid0(VALU_DEP_4) | instskip(NEXT) | instid1(VALU_DEP_4)
	v_add_f64 v[6:7], v[6:7], v[20:21]
	v_cvt_i32_f64_e32 v27, v[27:28]
	s_delay_alu instid0(VALU_DEP_4) | instskip(NEXT) | instid1(VALU_DEP_2)
	v_add_f64 v[18:19], v[18:19], -v[31:32]
	v_cvt_f64_i32_e32 v[25:26], v27
	s_delay_alu instid0(VALU_DEP_2) | instskip(NEXT) | instid1(VALU_DEP_2)
	v_add_f64 v[4:5], v[4:5], v[18:19]
	v_add_f64 v[10:11], v[10:11], -v[25:26]
	s_delay_alu instid0(VALU_DEP_2) | instskip(NEXT) | instid1(VALU_DEP_2)
	v_add_f64 v[4:5], v[6:7], v[4:5]
	v_add_f64 v[6:7], v[14:15], v[10:11]
	s_delay_alu instid0(VALU_DEP_2) | instskip(NEXT) | instid1(VALU_DEP_2)
	v_add_f64 v[4:5], v[16:17], v[4:5]
	v_add_f64 v[10:11], v[6:7], -v[10:11]
	v_cmp_le_f64_e32 vcc_lo, 0.5, v[6:7]
	s_delay_alu instid0(VALU_DEP_3) | instskip(NEXT) | instid1(VALU_DEP_3)
	v_add_f64 v[4:5], v[8:9], v[4:5]
	v_add_f64 v[9:10], v[14:15], -v[10:11]
	v_cndmask_b32_e64 v25, 0, 0x3ff00000, vcc_lo
	v_add_co_ci_u32_e64 v8, s0, 0, v27, vcc_lo
	s_delay_alu instid0(VALU_DEP_2) | instskip(NEXT) | instid1(VALU_DEP_4)
	v_add_f64 v[6:7], v[6:7], -v[24:25]
	v_add_f64 v[4:5], v[4:5], v[9:10]
	s_delay_alu instid0(VALU_DEP_1) | instskip(NEXT) | instid1(VALU_DEP_1)
	v_add_f64 v[9:10], v[6:7], v[4:5]
	v_mul_f64 v[11:12], v[9:10], s[2:3]
	v_add_f64 v[6:7], v[9:10], -v[6:7]
	s_delay_alu instid0(VALU_DEP_2) | instskip(NEXT) | instid1(VALU_DEP_2)
	v_fma_f64 v[13:14], v[9:10], s[2:3], -v[11:12]
	v_add_f64 v[4:5], v[4:5], -v[6:7]
	s_delay_alu instid0(VALU_DEP_2) | instskip(NEXT) | instid1(VALU_DEP_1)
	v_fma_f64 v[6:7], v[9:10], s[4:5], v[13:14]
	v_fma_f64 v[6:7], v[4:5], s[2:3], v[6:7]
	s_delay_alu instid0(VALU_DEP_1) | instskip(NEXT) | instid1(VALU_DEP_1)
	v_add_f64 v[4:5], v[11:12], v[6:7]
	v_add_f64 v[9:10], v[4:5], -v[11:12]
	s_delay_alu instid0(VALU_DEP_1)
	v_add_f64 v[6:7], v[6:7], -v[9:10]
.LBB91_11:
	s_and_not1_saveexec_b32 s0, s1
	s_cbranch_execz .LBB91_13
; %bb.12:
	s_mov_b32 s2, 0x6dc9c883
	s_mov_b32 s3, 0x3fe45f30
	;; [unrolled: 1-line block ×3, first 2 shown]
	s_delay_alu instid0(VALU_DEP_1) | instskip(SKIP_3) | instid1(VALU_DEP_1)
	v_mul_f64 v[4:5], v[2:3], s[2:3]
	s_mov_b32 s2, 0x54442d18
	s_mov_b32 s3, 0xbff921fb
	;; [unrolled: 1-line block ×3, first 2 shown]
	v_rndne_f64_e32 v[8:9], v[4:5]
	s_delay_alu instid0(VALU_DEP_1) | instskip(SKIP_3) | instid1(VALU_DEP_2)
	v_fma_f64 v[4:5], v[8:9], s[2:3], v[2:3]
	v_mul_f64 v[6:7], v[8:9], s[4:5]
	s_mov_b32 s2, 0x252049c0
	s_mov_b32 s3, 0xb97b839a
	v_fma_f64 v[12:13], v[8:9], s[4:5], v[4:5]
	s_delay_alu instid0(VALU_DEP_2) | instskip(SKIP_1) | instid1(VALU_DEP_1)
	v_add_f64 v[10:11], v[4:5], v[6:7]
	s_mov_b32 s5, 0x3c91a626
	v_add_f64 v[4:5], v[4:5], -v[10:11]
	s_delay_alu instid0(VALU_DEP_3) | instskip(NEXT) | instid1(VALU_DEP_2)
	v_add_f64 v[10:11], v[10:11], -v[12:13]
	v_add_f64 v[4:5], v[4:5], v[6:7]
	v_fma_f64 v[6:7], v[8:9], s[4:5], v[6:7]
	s_delay_alu instid0(VALU_DEP_2) | instskip(NEXT) | instid1(VALU_DEP_1)
	v_add_f64 v[4:5], v[10:11], v[4:5]
	v_add_f64 v[4:5], v[4:5], -v[6:7]
	s_delay_alu instid0(VALU_DEP_1) | instskip(SKIP_1) | instid1(VALU_DEP_2)
	v_fma_f64 v[6:7], v[8:9], s[2:3], v[4:5]
	v_cvt_i32_f64_e32 v8, v[8:9]
	v_add_f64 v[4:5], v[12:13], v[6:7]
	s_delay_alu instid0(VALU_DEP_1) | instskip(NEXT) | instid1(VALU_DEP_1)
	v_add_f64 v[10:11], v[4:5], -v[12:13]
	v_add_f64 v[6:7], v[6:7], -v[10:11]
.LBB91_13:
	s_or_b32 exec_lo, exec_lo, s0
	v_mul_f64 v[9:10], v[4:5], v[4:5]
	s_mov_b32 s0, 0xb42fdfa7
	s_mov_b32 s2, 0xf9a43bb8
	;; [unrolled: 1-line block ×6, first 2 shown]
	s_delay_alu instid0(VALU_DEP_2) | instskip(SKIP_2) | instid1(VALU_DEP_2)
	v_mul_f64 v[19:20], v[6:7], 0.5
	v_and_b32_e32 v2, 1, v8
	v_lshlrev_b64 v[0:1], 2, v[0:1]
	v_cmp_eq_u32_e32 vcc_lo, 0, v2
	v_fma_f64 v[11:12], v[9:10], s[2:3], s[0:1]
	s_mov_b32 s0, 0x9037ab78
	s_mov_b32 s2, 0x46cc5e42
	;; [unrolled: 1-line block ×4, first 2 shown]
	v_mul_f64 v[15:16], v[9:10], 0.5
	v_fma_f64 v[13:14], v[9:10], s[2:3], s[0:1]
	s_mov_b32 s0, 0xa17f65f6
	s_mov_b32 s2, 0x19e83e5c
	;; [unrolled: 1-line block ×4, first 2 shown]
	v_mul_f64 v[21:22], v[4:5], -v[9:10]
	s_delay_alu instid0(VALU_DEP_4) | instskip(NEXT) | instid1(VALU_DEP_4)
	v_fma_f64 v[11:12], v[9:10], v[11:12], s[4:5]
	v_add_f64 v[17:18], -v[15:16], 1.0
	s_delay_alu instid0(VALU_DEP_4) | instskip(SKIP_2) | instid1(VALU_DEP_3)
	v_fma_f64 v[13:14], v[9:10], v[13:14], s[0:1]
	s_mov_b32 s0, 0x19f4ec90
	s_mov_b32 s1, 0x3efa01a0
	v_fma_f64 v[11:12], v[9:10], v[11:12], s[2:3]
	s_mov_b32 s2, 0x11110bb3
	s_mov_b32 s3, 0x3f811111
	s_delay_alu instid0(VALU_DEP_3) | instskip(NEXT) | instid1(VALU_DEP_3)
	v_add_f64 v[23:24], -v[17:18], 1.0
	v_fma_f64 v[13:14], v[9:10], v[13:14], s[0:1]
	s_mov_b32 s0, 0x16c16967
	s_mov_b32 s1, 0xbf56c16c
	s_delay_alu instid0(VALU_DEP_3) | instskip(NEXT) | instid1(VALU_DEP_3)
	v_fma_f64 v[11:12], v[9:10], v[11:12], s[2:3]
	v_add_f64 v[15:16], v[23:24], -v[15:16]
	s_delay_alu instid0(VALU_DEP_3) | instskip(SKIP_2) | instid1(VALU_DEP_3)
	v_fma_f64 v[13:14], v[9:10], v[13:14], s[0:1]
	s_mov_b32 s1, 0x3fa55555
	s_mov_b32 s0, 0x55555555
	v_fma_f64 v[11:12], v[21:22], v[11:12], v[19:20]
	v_mul_f64 v[19:20], v[9:10], v[9:10]
	s_delay_alu instid0(VALU_DEP_4) | instskip(NEXT) | instid1(VALU_DEP_4)
	v_fma_f64 v[15:16], v[4:5], -v[6:7], v[15:16]
	v_fma_f64 v[13:14], v[9:10], v[13:14], s[0:1]
	s_mov_b32 s1, 0xbfc55555
	s_delay_alu instid0(VALU_DEP_4) | instskip(NEXT) | instid1(VALU_DEP_2)
	v_fma_f64 v[6:7], v[9:10], v[11:12], -v[6:7]
	v_fma_f64 v[9:10], v[19:20], v[13:14], v[15:16]
	s_delay_alu instid0(VALU_DEP_2) | instskip(NEXT) | instid1(VALU_DEP_2)
	v_fma_f64 v[6:7], v[21:22], s[0:1], v[6:7]
	v_add_f64 v[9:10], v[17:18], v[9:10]
	s_delay_alu instid0(VALU_DEP_2) | instskip(SKIP_1) | instid1(VALU_DEP_1)
	v_add_f64 v[4:5], v[4:5], -v[6:7]
	v_lshlrev_b32_e32 v6, 30, v8
	v_xor_b32_e32 v3, v6, v3
	s_delay_alu instid0(VALU_DEP_1) | instskip(NEXT) | instid1(VALU_DEP_4)
	v_dual_cndmask_b32 v2, v9, v4 :: v_dual_and_b32 v3, 0x80000000, v3
	v_cndmask_b32_e32 v4, v10, v5, vcc_lo
	v_add_co_u32 v0, vcc_lo, s16, v0
	v_add_co_ci_u32_e32 v1, vcc_lo, s17, v1, vcc_lo
	s_delay_alu instid0(VALU_DEP_3) | instskip(NEXT) | instid1(VALU_DEP_1)
	v_xor_b32_e32 v3, v4, v3
	v_cvt_i32_f64_e32 v2, v[2:3]
	global_store_b32 v[0:1], v2, off
.LBB91_14:
	s_nop 0
	s_sendmsg sendmsg(MSG_DEALLOC_VGPRS)
	s_endpgm
	.section	.rodata,"a",@progbits
	.p2align	6, 0x0
	.amdhsa_kernel _Z11fill_kernelIiZ21hipblaslt_init_deviceIiEv8ABC_dims24hipblaslt_initializationbPT_mmmmmEUlmE2_EvS4_mmT0_
		.amdhsa_group_segment_fixed_size 0
		.amdhsa_private_segment_fixed_size 0
		.amdhsa_kernarg_size 312
		.amdhsa_user_sgpr_count 15
		.amdhsa_user_sgpr_dispatch_ptr 0
		.amdhsa_user_sgpr_queue_ptr 0
		.amdhsa_user_sgpr_kernarg_segment_ptr 1
		.amdhsa_user_sgpr_dispatch_id 0
		.amdhsa_user_sgpr_private_segment_size 0
		.amdhsa_wavefront_size32 1
		.amdhsa_uses_dynamic_stack 0
		.amdhsa_enable_private_segment 0
		.amdhsa_system_sgpr_workgroup_id_x 1
		.amdhsa_system_sgpr_workgroup_id_y 0
		.amdhsa_system_sgpr_workgroup_id_z 0
		.amdhsa_system_sgpr_workgroup_info 0
		.amdhsa_system_vgpr_workitem_id 0
		.amdhsa_next_free_vgpr 33
		.amdhsa_next_free_sgpr 20
		.amdhsa_reserve_vcc 1
		.amdhsa_float_round_mode_32 0
		.amdhsa_float_round_mode_16_64 0
		.amdhsa_float_denorm_mode_32 3
		.amdhsa_float_denorm_mode_16_64 3
		.amdhsa_dx10_clamp 1
		.amdhsa_ieee_mode 1
		.amdhsa_fp16_overflow 0
		.amdhsa_workgroup_processor_mode 1
		.amdhsa_memory_ordered 1
		.amdhsa_forward_progress 0
		.amdhsa_shared_vgpr_count 0
		.amdhsa_exception_fp_ieee_invalid_op 0
		.amdhsa_exception_fp_denorm_src 0
		.amdhsa_exception_fp_ieee_div_zero 0
		.amdhsa_exception_fp_ieee_overflow 0
		.amdhsa_exception_fp_ieee_underflow 0
		.amdhsa_exception_fp_ieee_inexact 0
		.amdhsa_exception_int_div_zero 0
	.end_amdhsa_kernel
	.section	.text._Z11fill_kernelIiZ21hipblaslt_init_deviceIiEv8ABC_dims24hipblaslt_initializationbPT_mmmmmEUlmE2_EvS4_mmT0_,"axG",@progbits,_Z11fill_kernelIiZ21hipblaslt_init_deviceIiEv8ABC_dims24hipblaslt_initializationbPT_mmmmmEUlmE2_EvS4_mmT0_,comdat
.Lfunc_end91:
	.size	_Z11fill_kernelIiZ21hipblaslt_init_deviceIiEv8ABC_dims24hipblaslt_initializationbPT_mmmmmEUlmE2_EvS4_mmT0_, .Lfunc_end91-_Z11fill_kernelIiZ21hipblaslt_init_deviceIiEv8ABC_dims24hipblaslt_initializationbPT_mmmmmEUlmE2_EvS4_mmT0_
                                        ; -- End function
	.section	.AMDGPU.csdata,"",@progbits
; Kernel info:
; codeLenInByte = 3568
; NumSgprs: 22
; NumVgprs: 33
; ScratchSize: 0
; MemoryBound: 0
; FloatMode: 240
; IeeeMode: 1
; LDSByteSize: 0 bytes/workgroup (compile time only)
; SGPRBlocks: 2
; VGPRBlocks: 4
; NumSGPRsForWavesPerEU: 22
; NumVGPRsForWavesPerEU: 33
; Occupancy: 16
; WaveLimiterHint : 0
; COMPUTE_PGM_RSRC2:SCRATCH_EN: 0
; COMPUTE_PGM_RSRC2:USER_SGPR: 15
; COMPUTE_PGM_RSRC2:TRAP_HANDLER: 0
; COMPUTE_PGM_RSRC2:TGID_X_EN: 1
; COMPUTE_PGM_RSRC2:TGID_Y_EN: 0
; COMPUTE_PGM_RSRC2:TGID_Z_EN: 0
; COMPUTE_PGM_RSRC2:TIDIG_COMP_CNT: 0
	.section	.text._Z11fill_kernelIiZ21hipblaslt_init_deviceIiEv8ABC_dims24hipblaslt_initializationbPT_mmmmmEUlmE3_EvS4_mmT0_,"axG",@progbits,_Z11fill_kernelIiZ21hipblaslt_init_deviceIiEv8ABC_dims24hipblaslt_initializationbPT_mmmmmEUlmE3_EvS4_mmT0_,comdat
	.protected	_Z11fill_kernelIiZ21hipblaslt_init_deviceIiEv8ABC_dims24hipblaslt_initializationbPT_mmmmmEUlmE3_EvS4_mmT0_ ; -- Begin function _Z11fill_kernelIiZ21hipblaslt_init_deviceIiEv8ABC_dims24hipblaslt_initializationbPT_mmmmmEUlmE3_EvS4_mmT0_
	.globl	_Z11fill_kernelIiZ21hipblaslt_init_deviceIiEv8ABC_dims24hipblaslt_initializationbPT_mmmmmEUlmE3_EvS4_mmT0_
	.p2align	8
	.type	_Z11fill_kernelIiZ21hipblaslt_init_deviceIiEv8ABC_dims24hipblaslt_initializationbPT_mmmmmEUlmE3_EvS4_mmT0_,@function
_Z11fill_kernelIiZ21hipblaslt_init_deviceIiEv8ABC_dims24hipblaslt_initializationbPT_mmmmmEUlmE3_EvS4_mmT0_: ; @_Z11fill_kernelIiZ21hipblaslt_init_deviceIiEv8ABC_dims24hipblaslt_initializationbPT_mmmmmEUlmE3_EvS4_mmT0_
; %bb.0:
	s_clause 0x1
	s_load_b32 s2, s[0:1], 0x44
	s_load_b128 s[16:19], s[0:1], 0x0
	s_waitcnt lgkmcnt(0)
	s_and_b32 s2, s2, 0xffff
	s_delay_alu instid0(SALU_CYCLE_1) | instskip(SKIP_2) | instid1(VALU_DEP_1)
	v_mad_u64_u32 v[1:2], null, s15, s2, v[0:1]
	v_mov_b32_e32 v2, 0
	s_mov_b32 s2, exec_lo
	v_cmpx_gt_u64_e64 s[18:19], v[1:2]
	s_cbranch_execz .LBB92_14
; %bb.1:
	s_clause 0x1
	s_load_b64 s[2:3], s[0:1], 0x10
	s_load_b256 s[4:11], s[0:1], 0x18
	s_waitcnt lgkmcnt(0)
	v_add_co_u32 v0, s0, v1, s2
	s_delay_alu instid0(VALU_DEP_1) | instskip(NEXT) | instid1(VALU_DEP_1)
	v_add_co_ci_u32_e64 v1, null, 0, s3, s0
	v_or_b32_e32 v3, s9, v1
	s_delay_alu instid0(VALU_DEP_1) | instskip(SKIP_1) | instid1(SALU_CYCLE_1)
	v_cmp_ne_u64_e32 vcc_lo, 0, v[2:3]
                                        ; implicit-def: $vgpr2_vgpr3
	s_and_saveexec_b32 s0, vcc_lo
	s_xor_b32 s1, exec_lo, s0
	s_cbranch_execz .LBB92_3
; %bb.2:
	v_cvt_f32_u32_e32 v2, s8
	v_cvt_f32_u32_e32 v3, s9
	s_sub_u32 s0, 0, s8
	s_subb_u32 s2, 0, s9
	s_delay_alu instid0(VALU_DEP_1) | instskip(NEXT) | instid1(VALU_DEP_1)
	v_fmamk_f32 v2, v3, 0x4f800000, v2
	v_rcp_f32_e32 v2, v2
	s_waitcnt_depctr 0xfff
	v_mul_f32_e32 v2, 0x5f7ffffc, v2
	s_delay_alu instid0(VALU_DEP_1) | instskip(NEXT) | instid1(VALU_DEP_1)
	v_mul_f32_e32 v3, 0x2f800000, v2
	v_trunc_f32_e32 v3, v3
	s_delay_alu instid0(VALU_DEP_1) | instskip(SKIP_1) | instid1(VALU_DEP_2)
	v_fmamk_f32 v2, v3, 0xcf800000, v2
	v_cvt_u32_f32_e32 v3, v3
	v_cvt_u32_f32_e32 v2, v2
	s_delay_alu instid0(VALU_DEP_2) | instskip(NEXT) | instid1(VALU_DEP_2)
	v_mul_lo_u32 v4, s0, v3
	v_mul_hi_u32 v5, s0, v2
	v_mul_lo_u32 v6, s2, v2
	s_delay_alu instid0(VALU_DEP_2) | instskip(SKIP_1) | instid1(VALU_DEP_2)
	v_add_nc_u32_e32 v4, v5, v4
	v_mul_lo_u32 v5, s0, v2
	v_add_nc_u32_e32 v4, v4, v6
	s_delay_alu instid0(VALU_DEP_2) | instskip(NEXT) | instid1(VALU_DEP_2)
	v_mul_hi_u32 v6, v2, v5
	v_mul_lo_u32 v7, v2, v4
	v_mul_hi_u32 v8, v2, v4
	v_mul_hi_u32 v9, v3, v5
	v_mul_lo_u32 v5, v3, v5
	v_mul_hi_u32 v10, v3, v4
	v_mul_lo_u32 v4, v3, v4
	v_add_co_u32 v6, vcc_lo, v6, v7
	v_add_co_ci_u32_e32 v7, vcc_lo, 0, v8, vcc_lo
	s_delay_alu instid0(VALU_DEP_2) | instskip(NEXT) | instid1(VALU_DEP_2)
	v_add_co_u32 v5, vcc_lo, v6, v5
	v_add_co_ci_u32_e32 v5, vcc_lo, v7, v9, vcc_lo
	v_add_co_ci_u32_e32 v6, vcc_lo, 0, v10, vcc_lo
	s_delay_alu instid0(VALU_DEP_2) | instskip(NEXT) | instid1(VALU_DEP_2)
	v_add_co_u32 v4, vcc_lo, v5, v4
	v_add_co_ci_u32_e32 v5, vcc_lo, 0, v6, vcc_lo
	s_delay_alu instid0(VALU_DEP_2) | instskip(NEXT) | instid1(VALU_DEP_2)
	v_add_co_u32 v2, vcc_lo, v2, v4
	v_add_co_ci_u32_e32 v3, vcc_lo, v3, v5, vcc_lo
	s_delay_alu instid0(VALU_DEP_2) | instskip(SKIP_1) | instid1(VALU_DEP_3)
	v_mul_hi_u32 v4, s0, v2
	v_mul_lo_u32 v6, s2, v2
	v_mul_lo_u32 v5, s0, v3
	s_delay_alu instid0(VALU_DEP_1) | instskip(SKIP_1) | instid1(VALU_DEP_2)
	v_add_nc_u32_e32 v4, v4, v5
	v_mul_lo_u32 v5, s0, v2
	v_add_nc_u32_e32 v4, v4, v6
	s_delay_alu instid0(VALU_DEP_2) | instskip(NEXT) | instid1(VALU_DEP_2)
	v_mul_hi_u32 v6, v2, v5
	v_mul_lo_u32 v7, v2, v4
	v_mul_hi_u32 v8, v2, v4
	v_mul_hi_u32 v9, v3, v5
	v_mul_lo_u32 v5, v3, v5
	v_mul_hi_u32 v10, v3, v4
	v_mul_lo_u32 v4, v3, v4
	v_add_co_u32 v6, vcc_lo, v6, v7
	v_add_co_ci_u32_e32 v7, vcc_lo, 0, v8, vcc_lo
	s_delay_alu instid0(VALU_DEP_2) | instskip(NEXT) | instid1(VALU_DEP_2)
	v_add_co_u32 v5, vcc_lo, v6, v5
	v_add_co_ci_u32_e32 v5, vcc_lo, v7, v9, vcc_lo
	v_add_co_ci_u32_e32 v6, vcc_lo, 0, v10, vcc_lo
	s_delay_alu instid0(VALU_DEP_2) | instskip(NEXT) | instid1(VALU_DEP_2)
	v_add_co_u32 v4, vcc_lo, v5, v4
	v_add_co_ci_u32_e32 v5, vcc_lo, 0, v6, vcc_lo
	s_delay_alu instid0(VALU_DEP_2) | instskip(NEXT) | instid1(VALU_DEP_2)
	v_add_co_u32 v6, vcc_lo, v2, v4
	v_add_co_ci_u32_e32 v8, vcc_lo, v3, v5, vcc_lo
	s_delay_alu instid0(VALU_DEP_2) | instskip(SKIP_1) | instid1(VALU_DEP_3)
	v_mul_hi_u32 v9, v0, v6
	v_mad_u64_u32 v[4:5], null, v1, v6, 0
	v_mad_u64_u32 v[2:3], null, v0, v8, 0
	;; [unrolled: 1-line block ×3, first 2 shown]
	s_delay_alu instid0(VALU_DEP_2) | instskip(NEXT) | instid1(VALU_DEP_3)
	v_add_co_u32 v2, vcc_lo, v9, v2
	v_add_co_ci_u32_e32 v3, vcc_lo, 0, v3, vcc_lo
	s_delay_alu instid0(VALU_DEP_2) | instskip(NEXT) | instid1(VALU_DEP_2)
	v_add_co_u32 v2, vcc_lo, v2, v4
	v_add_co_ci_u32_e32 v2, vcc_lo, v3, v5, vcc_lo
	v_add_co_ci_u32_e32 v3, vcc_lo, 0, v7, vcc_lo
	s_delay_alu instid0(VALU_DEP_2) | instskip(NEXT) | instid1(VALU_DEP_2)
	v_add_co_u32 v4, vcc_lo, v2, v6
	v_add_co_ci_u32_e32 v5, vcc_lo, 0, v3, vcc_lo
	s_delay_alu instid0(VALU_DEP_2) | instskip(SKIP_1) | instid1(VALU_DEP_3)
	v_mul_lo_u32 v6, s9, v4
	v_mad_u64_u32 v[2:3], null, s8, v4, 0
	v_mul_lo_u32 v7, s8, v5
	s_delay_alu instid0(VALU_DEP_2) | instskip(NEXT) | instid1(VALU_DEP_2)
	v_sub_co_u32 v2, vcc_lo, v0, v2
	v_add3_u32 v3, v3, v7, v6
	s_delay_alu instid0(VALU_DEP_1) | instskip(NEXT) | instid1(VALU_DEP_1)
	v_sub_nc_u32_e32 v6, v1, v3
	v_subrev_co_ci_u32_e64 v6, s0, s9, v6, vcc_lo
	v_add_co_u32 v7, s0, v4, 2
	s_delay_alu instid0(VALU_DEP_1) | instskip(SKIP_3) | instid1(VALU_DEP_3)
	v_add_co_ci_u32_e64 v8, s0, 0, v5, s0
	v_sub_co_u32 v9, s0, v2, s8
	v_sub_co_ci_u32_e32 v3, vcc_lo, v1, v3, vcc_lo
	v_subrev_co_ci_u32_e64 v6, s0, 0, v6, s0
	v_cmp_le_u32_e32 vcc_lo, s8, v9
	s_delay_alu instid0(VALU_DEP_3) | instskip(SKIP_1) | instid1(VALU_DEP_4)
	v_cmp_eq_u32_e64 s0, s9, v3
	v_cndmask_b32_e64 v9, 0, -1, vcc_lo
	v_cmp_le_u32_e32 vcc_lo, s9, v6
	v_cndmask_b32_e64 v10, 0, -1, vcc_lo
	v_cmp_le_u32_e32 vcc_lo, s8, v2
	;; [unrolled: 2-line block ×3, first 2 shown]
	v_cndmask_b32_e64 v11, 0, -1, vcc_lo
	v_cmp_eq_u32_e32 vcc_lo, s9, v6
	s_delay_alu instid0(VALU_DEP_2) | instskip(SKIP_3) | instid1(VALU_DEP_3)
	v_cndmask_b32_e64 v2, v11, v2, s0
	v_cndmask_b32_e32 v6, v10, v9, vcc_lo
	v_add_co_u32 v9, vcc_lo, v4, 1
	v_add_co_ci_u32_e32 v10, vcc_lo, 0, v5, vcc_lo
	v_cmp_ne_u32_e32 vcc_lo, 0, v6
	s_delay_alu instid0(VALU_DEP_2) | instskip(SKIP_1) | instid1(VALU_DEP_2)
	v_dual_cndmask_b32 v3, v10, v8 :: v_dual_cndmask_b32 v6, v9, v7
	v_cmp_ne_u32_e32 vcc_lo, 0, v2
	v_dual_cndmask_b32 v3, v5, v3 :: v_dual_cndmask_b32 v2, v4, v6
.LBB92_3:
	s_and_not1_saveexec_b32 s0, s1
	s_cbranch_execz .LBB92_5
; %bb.4:
	v_cvt_f32_u32_e32 v2, s8
	s_sub_i32 s1, 0, s8
	s_delay_alu instid0(VALU_DEP_1) | instskip(SKIP_2) | instid1(VALU_DEP_1)
	v_rcp_iflag_f32_e32 v2, v2
	s_waitcnt_depctr 0xfff
	v_mul_f32_e32 v2, 0x4f7ffffe, v2
	v_cvt_u32_f32_e32 v2, v2
	s_delay_alu instid0(VALU_DEP_1) | instskip(NEXT) | instid1(VALU_DEP_1)
	v_mul_lo_u32 v3, s1, v2
	v_mul_hi_u32 v3, v2, v3
	s_delay_alu instid0(VALU_DEP_1) | instskip(NEXT) | instid1(VALU_DEP_1)
	v_add_nc_u32_e32 v2, v2, v3
	v_mul_hi_u32 v2, v0, v2
	s_delay_alu instid0(VALU_DEP_1) | instskip(SKIP_1) | instid1(VALU_DEP_2)
	v_mul_lo_u32 v3, v2, s8
	v_add_nc_u32_e32 v4, 1, v2
	v_sub_nc_u32_e32 v3, v0, v3
	s_delay_alu instid0(VALU_DEP_1) | instskip(SKIP_1) | instid1(VALU_DEP_2)
	v_subrev_nc_u32_e32 v5, s8, v3
	v_cmp_le_u32_e32 vcc_lo, s8, v3
	v_dual_cndmask_b32 v3, v3, v5 :: v_dual_cndmask_b32 v2, v2, v4
	s_delay_alu instid0(VALU_DEP_1) | instskip(NEXT) | instid1(VALU_DEP_2)
	v_cmp_le_u32_e32 vcc_lo, s8, v3
	v_dual_mov_b32 v3, 0 :: v_dual_add_nc_u32 v4, 1, v2
	s_delay_alu instid0(VALU_DEP_1)
	v_cndmask_b32_e32 v2, v2, v4, vcc_lo
.LBB92_5:
	s_or_b32 exec_lo, exec_lo, s0
	s_delay_alu instid0(VALU_DEP_1) | instskip(NEXT) | instid1(VALU_DEP_2)
	v_mul_lo_u32 v6, v3, s8
	v_mul_lo_u32 v7, v2, s9
	v_mad_u64_u32 v[4:5], null, v2, s8, 0
	s_delay_alu instid0(VALU_DEP_1) | instskip(NEXT) | instid1(VALU_DEP_2)
	v_add3_u32 v5, v5, v7, v6
	v_sub_co_u32 v6, vcc_lo, v0, v4
	v_mov_b32_e32 v4, 0
	s_delay_alu instid0(VALU_DEP_3) | instskip(NEXT) | instid1(VALU_DEP_1)
	v_sub_co_ci_u32_e32 v7, vcc_lo, v1, v5, vcc_lo
	v_or_b32_e32 v5, s11, v7
	s_delay_alu instid0(VALU_DEP_1) | instskip(SKIP_1) | instid1(SALU_CYCLE_1)
	v_cmp_ne_u64_e32 vcc_lo, 0, v[4:5]
                                        ; implicit-def: $vgpr4_vgpr5
	s_and_saveexec_b32 s0, vcc_lo
	s_xor_b32 s1, exec_lo, s0
	s_cbranch_execz .LBB92_7
; %bb.6:
	v_cvt_f32_u32_e32 v4, s10
	v_cvt_f32_u32_e32 v5, s11
	s_sub_u32 s0, 0, s10
	s_subb_u32 s2, 0, s11
	s_delay_alu instid0(VALU_DEP_1) | instskip(NEXT) | instid1(VALU_DEP_1)
	v_fmamk_f32 v4, v5, 0x4f800000, v4
	v_rcp_f32_e32 v4, v4
	s_waitcnt_depctr 0xfff
	v_mul_f32_e32 v4, 0x5f7ffffc, v4
	s_delay_alu instid0(VALU_DEP_1) | instskip(NEXT) | instid1(VALU_DEP_1)
	v_mul_f32_e32 v5, 0x2f800000, v4
	v_trunc_f32_e32 v5, v5
	s_delay_alu instid0(VALU_DEP_1) | instskip(SKIP_1) | instid1(VALU_DEP_2)
	v_fmamk_f32 v4, v5, 0xcf800000, v4
	v_cvt_u32_f32_e32 v5, v5
	v_cvt_u32_f32_e32 v4, v4
	s_delay_alu instid0(VALU_DEP_2) | instskip(NEXT) | instid1(VALU_DEP_2)
	v_mul_lo_u32 v8, s0, v5
	v_mul_hi_u32 v9, s0, v4
	v_mul_lo_u32 v10, s2, v4
	s_delay_alu instid0(VALU_DEP_2) | instskip(SKIP_1) | instid1(VALU_DEP_2)
	v_add_nc_u32_e32 v8, v9, v8
	v_mul_lo_u32 v9, s0, v4
	v_add_nc_u32_e32 v8, v8, v10
	s_delay_alu instid0(VALU_DEP_2) | instskip(NEXT) | instid1(VALU_DEP_2)
	v_mul_hi_u32 v10, v4, v9
	v_mul_lo_u32 v11, v4, v8
	v_mul_hi_u32 v12, v4, v8
	v_mul_hi_u32 v13, v5, v9
	v_mul_lo_u32 v9, v5, v9
	v_mul_hi_u32 v14, v5, v8
	v_mul_lo_u32 v8, v5, v8
	v_add_co_u32 v10, vcc_lo, v10, v11
	v_add_co_ci_u32_e32 v11, vcc_lo, 0, v12, vcc_lo
	s_delay_alu instid0(VALU_DEP_2) | instskip(NEXT) | instid1(VALU_DEP_2)
	v_add_co_u32 v9, vcc_lo, v10, v9
	v_add_co_ci_u32_e32 v9, vcc_lo, v11, v13, vcc_lo
	v_add_co_ci_u32_e32 v10, vcc_lo, 0, v14, vcc_lo
	s_delay_alu instid0(VALU_DEP_2) | instskip(NEXT) | instid1(VALU_DEP_2)
	v_add_co_u32 v8, vcc_lo, v9, v8
	v_add_co_ci_u32_e32 v9, vcc_lo, 0, v10, vcc_lo
	s_delay_alu instid0(VALU_DEP_2) | instskip(NEXT) | instid1(VALU_DEP_2)
	v_add_co_u32 v4, vcc_lo, v4, v8
	v_add_co_ci_u32_e32 v5, vcc_lo, v5, v9, vcc_lo
	s_delay_alu instid0(VALU_DEP_2) | instskip(SKIP_1) | instid1(VALU_DEP_3)
	v_mul_hi_u32 v8, s0, v4
	v_mul_lo_u32 v10, s2, v4
	v_mul_lo_u32 v9, s0, v5
	s_delay_alu instid0(VALU_DEP_1) | instskip(SKIP_1) | instid1(VALU_DEP_2)
	v_add_nc_u32_e32 v8, v8, v9
	v_mul_lo_u32 v9, s0, v4
	v_add_nc_u32_e32 v8, v8, v10
	s_delay_alu instid0(VALU_DEP_2) | instskip(NEXT) | instid1(VALU_DEP_2)
	v_mul_hi_u32 v10, v4, v9
	v_mul_lo_u32 v11, v4, v8
	v_mul_hi_u32 v12, v4, v8
	v_mul_hi_u32 v13, v5, v9
	v_mul_lo_u32 v9, v5, v9
	v_mul_hi_u32 v14, v5, v8
	v_mul_lo_u32 v8, v5, v8
	v_add_co_u32 v10, vcc_lo, v10, v11
	v_add_co_ci_u32_e32 v11, vcc_lo, 0, v12, vcc_lo
	s_delay_alu instid0(VALU_DEP_2) | instskip(NEXT) | instid1(VALU_DEP_2)
	v_add_co_u32 v9, vcc_lo, v10, v9
	v_add_co_ci_u32_e32 v9, vcc_lo, v11, v13, vcc_lo
	v_add_co_ci_u32_e32 v10, vcc_lo, 0, v14, vcc_lo
	s_delay_alu instid0(VALU_DEP_2) | instskip(NEXT) | instid1(VALU_DEP_2)
	v_add_co_u32 v8, vcc_lo, v9, v8
	v_add_co_ci_u32_e32 v9, vcc_lo, 0, v10, vcc_lo
	s_delay_alu instid0(VALU_DEP_2) | instskip(NEXT) | instid1(VALU_DEP_2)
	v_add_co_u32 v10, vcc_lo, v4, v8
	v_add_co_ci_u32_e32 v12, vcc_lo, v5, v9, vcc_lo
	s_delay_alu instid0(VALU_DEP_2) | instskip(SKIP_1) | instid1(VALU_DEP_3)
	v_mul_hi_u32 v13, v6, v10
	v_mad_u64_u32 v[8:9], null, v7, v10, 0
	v_mad_u64_u32 v[4:5], null, v6, v12, 0
	;; [unrolled: 1-line block ×3, first 2 shown]
	s_delay_alu instid0(VALU_DEP_2) | instskip(NEXT) | instid1(VALU_DEP_3)
	v_add_co_u32 v4, vcc_lo, v13, v4
	v_add_co_ci_u32_e32 v5, vcc_lo, 0, v5, vcc_lo
	s_delay_alu instid0(VALU_DEP_2) | instskip(NEXT) | instid1(VALU_DEP_2)
	v_add_co_u32 v4, vcc_lo, v4, v8
	v_add_co_ci_u32_e32 v4, vcc_lo, v5, v9, vcc_lo
	v_add_co_ci_u32_e32 v5, vcc_lo, 0, v11, vcc_lo
	s_delay_alu instid0(VALU_DEP_2) | instskip(NEXT) | instid1(VALU_DEP_2)
	v_add_co_u32 v8, vcc_lo, v4, v10
	v_add_co_ci_u32_e32 v9, vcc_lo, 0, v5, vcc_lo
	s_delay_alu instid0(VALU_DEP_2) | instskip(SKIP_1) | instid1(VALU_DEP_3)
	v_mul_lo_u32 v10, s11, v8
	v_mad_u64_u32 v[4:5], null, s10, v8, 0
	v_mul_lo_u32 v11, s10, v9
	s_delay_alu instid0(VALU_DEP_2) | instskip(NEXT) | instid1(VALU_DEP_2)
	v_sub_co_u32 v4, vcc_lo, v6, v4
	v_add3_u32 v5, v5, v11, v10
	s_delay_alu instid0(VALU_DEP_1) | instskip(NEXT) | instid1(VALU_DEP_1)
	v_sub_nc_u32_e32 v10, v7, v5
	v_subrev_co_ci_u32_e64 v10, s0, s11, v10, vcc_lo
	v_add_co_u32 v11, s0, v8, 2
	s_delay_alu instid0(VALU_DEP_1) | instskip(SKIP_3) | instid1(VALU_DEP_3)
	v_add_co_ci_u32_e64 v12, s0, 0, v9, s0
	v_sub_co_u32 v13, s0, v4, s10
	v_sub_co_ci_u32_e32 v5, vcc_lo, v7, v5, vcc_lo
	v_subrev_co_ci_u32_e64 v10, s0, 0, v10, s0
	v_cmp_le_u32_e32 vcc_lo, s10, v13
	s_delay_alu instid0(VALU_DEP_3) | instskip(SKIP_1) | instid1(VALU_DEP_4)
	v_cmp_eq_u32_e64 s0, s11, v5
	v_cndmask_b32_e64 v13, 0, -1, vcc_lo
	v_cmp_le_u32_e32 vcc_lo, s11, v10
	v_cndmask_b32_e64 v14, 0, -1, vcc_lo
	v_cmp_le_u32_e32 vcc_lo, s10, v4
	;; [unrolled: 2-line block ×3, first 2 shown]
	v_cndmask_b32_e64 v15, 0, -1, vcc_lo
	v_cmp_eq_u32_e32 vcc_lo, s11, v10
	s_delay_alu instid0(VALU_DEP_2) | instskip(SKIP_3) | instid1(VALU_DEP_3)
	v_cndmask_b32_e64 v4, v15, v4, s0
	v_cndmask_b32_e32 v10, v14, v13, vcc_lo
	v_add_co_u32 v13, vcc_lo, v8, 1
	v_add_co_ci_u32_e32 v14, vcc_lo, 0, v9, vcc_lo
	v_cmp_ne_u32_e32 vcc_lo, 0, v10
	s_delay_alu instid0(VALU_DEP_2) | instskip(SKIP_1) | instid1(VALU_DEP_2)
	v_dual_cndmask_b32 v5, v14, v12 :: v_dual_cndmask_b32 v10, v13, v11
	v_cmp_ne_u32_e32 vcc_lo, 0, v4
	v_dual_cndmask_b32 v5, v9, v5 :: v_dual_cndmask_b32 v4, v8, v10
.LBB92_7:
	s_and_not1_saveexec_b32 s0, s1
	s_cbranch_execz .LBB92_9
; %bb.8:
	v_cvt_f32_u32_e32 v4, s10
	s_sub_i32 s1, 0, s10
	s_delay_alu instid0(VALU_DEP_1) | instskip(SKIP_2) | instid1(VALU_DEP_1)
	v_rcp_iflag_f32_e32 v4, v4
	s_waitcnt_depctr 0xfff
	v_mul_f32_e32 v4, 0x4f7ffffe, v4
	v_cvt_u32_f32_e32 v4, v4
	s_delay_alu instid0(VALU_DEP_1) | instskip(NEXT) | instid1(VALU_DEP_1)
	v_mul_lo_u32 v5, s1, v4
	v_mul_hi_u32 v5, v4, v5
	s_delay_alu instid0(VALU_DEP_1) | instskip(NEXT) | instid1(VALU_DEP_1)
	v_add_nc_u32_e32 v4, v4, v5
	v_mul_hi_u32 v4, v6, v4
	s_delay_alu instid0(VALU_DEP_1) | instskip(SKIP_1) | instid1(VALU_DEP_2)
	v_mul_lo_u32 v5, v4, s10
	v_add_nc_u32_e32 v8, 1, v4
	v_sub_nc_u32_e32 v5, v6, v5
	s_delay_alu instid0(VALU_DEP_1) | instskip(SKIP_1) | instid1(VALU_DEP_2)
	v_subrev_nc_u32_e32 v9, s10, v5
	v_cmp_le_u32_e32 vcc_lo, s10, v5
	v_dual_cndmask_b32 v5, v5, v9 :: v_dual_cndmask_b32 v4, v4, v8
	s_delay_alu instid0(VALU_DEP_1) | instskip(NEXT) | instid1(VALU_DEP_2)
	v_cmp_le_u32_e32 vcc_lo, s10, v5
	v_dual_mov_b32 v5, 0 :: v_dual_add_nc_u32 v8, 1, v4
	s_delay_alu instid0(VALU_DEP_1)
	v_cndmask_b32_e32 v4, v4, v8, vcc_lo
.LBB92_9:
	s_or_b32 exec_lo, exec_lo, s0
	s_delay_alu instid0(VALU_DEP_1) | instskip(NEXT) | instid1(VALU_DEP_2)
	v_mul_lo_u32 v12, v5, s10
	v_mul_lo_u32 v13, v4, s11
	v_mad_u64_u32 v[8:9], null, v4, s10, 0
	v_mad_u64_u32 v[10:11], null, v2, s6, v[4:5]
	v_mul_lo_u32 v2, v2, s7
	v_mul_lo_u32 v3, v3, s6
	s_delay_alu instid0(VALU_DEP_4) | instskip(NEXT) | instid1(VALU_DEP_2)
	v_add3_u32 v4, v9, v13, v12
	v_add3_u32 v5, v3, v11, v2
	v_sub_co_u32 v2, vcc_lo, v6, v8
	s_delay_alu instid0(VALU_DEP_3) | instskip(SKIP_1) | instid1(VALU_DEP_4)
	v_sub_co_ci_u32_e32 v3, vcc_lo, v7, v4, vcc_lo
	v_mul_lo_u32 v6, v10, s5
	v_mul_lo_u32 v7, v5, s4
                                        ; implicit-def: $vgpr8
	s_delay_alu instid0(VALU_DEP_3) | instskip(NEXT) | instid1(VALU_DEP_1)
	v_mad_u64_u32 v[4:5], null, v10, s4, v[2:3]
	v_add3_u32 v5, v7, v5, v6
	s_delay_alu instid0(VALU_DEP_2) | instskip(NEXT) | instid1(VALU_DEP_2)
	v_cvt_f64_u32_e32 v[6:7], v4
	v_cvt_f64_u32_e32 v[2:3], v5
	v_cmp_lt_u64_e32 vcc_lo, 0x3fffffff, v[4:5]
                                        ; implicit-def: $vgpr4_vgpr5
	s_delay_alu instid0(VALU_DEP_2) | instskip(NEXT) | instid1(VALU_DEP_1)
	v_ldexp_f64 v[2:3], v[2:3], 32
	v_add_f64 v[6:7], v[2:3], v[6:7]
                                        ; implicit-def: $vgpr2_vgpr3
	s_and_saveexec_b32 s0, vcc_lo
	s_delay_alu instid0(SALU_CYCLE_1)
	s_xor_b32 s1, exec_lo, s0
	s_cbranch_execz .LBB92_11
; %bb.10:
	s_delay_alu instid0(VALU_DEP_1)
	v_trig_preop_f64 v[2:3], v[6:7], 0
	v_trig_preop_f64 v[4:5], v[6:7], 1
	;; [unrolled: 1-line block ×3, first 2 shown]
	v_mov_b32_e32 v24, 0
	s_mov_b32 s2, 0x54442d18
	s_mov_b32 s3, 0x3ff921fb
	;; [unrolled: 1-line block ×4, first 2 shown]
	s_delay_alu instid0(VALU_DEP_4) | instskip(NEXT) | instid1(VALU_DEP_4)
	v_mul_f64 v[8:9], v[2:3], v[6:7]
	v_mul_f64 v[10:11], v[4:5], v[6:7]
	s_delay_alu instid0(VALU_DEP_4) | instskip(NEXT) | instid1(VALU_DEP_3)
	v_mul_f64 v[22:23], v[16:17], v[6:7]
	v_fma_f64 v[2:3], v[2:3], v[6:7], -v[8:9]
	s_delay_alu instid0(VALU_DEP_3) | instskip(NEXT) | instid1(VALU_DEP_3)
	v_fma_f64 v[4:5], v[4:5], v[6:7], -v[10:11]
	v_fma_f64 v[6:7], v[16:17], v[6:7], -v[22:23]
	s_delay_alu instid0(VALU_DEP_3) | instskip(NEXT) | instid1(VALU_DEP_1)
	v_add_f64 v[12:13], v[10:11], v[2:3]
	v_add_f64 v[14:15], v[12:13], -v[10:11]
	v_add_f64 v[20:21], v[8:9], v[12:13]
	s_delay_alu instid0(VALU_DEP_2) | instskip(SKIP_1) | instid1(VALU_DEP_3)
	v_add_f64 v[18:19], v[12:13], -v[14:15]
	v_add_f64 v[2:3], v[2:3], -v[14:15]
	v_ldexp_f64 v[14:15], v[20:21], -2
	v_add_f64 v[8:9], v[20:21], -v[8:9]
	s_delay_alu instid0(VALU_DEP_4) | instskip(SKIP_1) | instid1(VALU_DEP_4)
	v_add_f64 v[10:11], v[10:11], -v[18:19]
	v_add_f64 v[18:19], v[22:23], v[4:5]
	v_cmp_neq_f64_e64 vcc_lo, 0x7ff00000, |v[14:15]|
	s_delay_alu instid0(VALU_DEP_4) | instskip(NEXT) | instid1(VALU_DEP_4)
	v_add_f64 v[8:9], v[12:13], -v[8:9]
	v_add_f64 v[2:3], v[2:3], v[10:11]
	v_fract_f64_e32 v[10:11], v[14:15]
	s_delay_alu instid0(VALU_DEP_2) | instskip(NEXT) | instid1(VALU_DEP_2)
	v_add_f64 v[12:13], v[18:19], v[2:3]
	v_dual_cndmask_b32 v11, 0, v11 :: v_dual_cndmask_b32 v10, 0, v10
	s_delay_alu instid0(VALU_DEP_1) | instskip(NEXT) | instid1(VALU_DEP_3)
	v_ldexp_f64 v[10:11], v[10:11], 2
	v_add_f64 v[14:15], v[8:9], v[12:13]
	s_delay_alu instid0(VALU_DEP_1) | instskip(SKIP_1) | instid1(VALU_DEP_2)
	v_add_f64 v[20:21], v[14:15], v[10:11]
	v_add_f64 v[8:9], v[14:15], -v[8:9]
	v_cmp_gt_f64_e32 vcc_lo, 0, v[20:21]
	v_add_f64 v[20:21], v[18:19], -v[22:23]
	s_delay_alu instid0(VALU_DEP_3) | instskip(SKIP_1) | instid1(VALU_DEP_3)
	v_add_f64 v[8:9], v[12:13], -v[8:9]
	v_cndmask_b32_e64 v25, 0, 0x40100000, vcc_lo
	v_add_f64 v[29:30], v[18:19], -v[20:21]
	v_add_f64 v[4:5], v[4:5], -v[20:21]
	s_delay_alu instid0(VALU_DEP_3) | instskip(SKIP_1) | instid1(VALU_DEP_4)
	v_add_f64 v[10:11], v[10:11], v[24:25]
	v_add_f64 v[25:26], v[12:13], -v[18:19]
	v_add_f64 v[20:21], v[22:23], -v[29:30]
	s_delay_alu instid0(VALU_DEP_3) | instskip(NEXT) | instid1(VALU_DEP_3)
	v_add_f64 v[27:28], v[14:15], v[10:11]
	v_add_f64 v[31:32], v[12:13], -v[25:26]
	v_add_f64 v[2:3], v[2:3], -v[25:26]
	s_delay_alu instid0(VALU_DEP_4) | instskip(NEXT) | instid1(VALU_DEP_4)
	v_add_f64 v[4:5], v[4:5], v[20:21]
	v_cvt_i32_f64_e32 v27, v[27:28]
	s_delay_alu instid0(VALU_DEP_4) | instskip(NEXT) | instid1(VALU_DEP_2)
	v_add_f64 v[18:19], v[18:19], -v[31:32]
	v_cvt_f64_i32_e32 v[25:26], v27
	s_delay_alu instid0(VALU_DEP_2) | instskip(NEXT) | instid1(VALU_DEP_2)
	v_add_f64 v[2:3], v[2:3], v[18:19]
	v_add_f64 v[10:11], v[10:11], -v[25:26]
	s_delay_alu instid0(VALU_DEP_2) | instskip(NEXT) | instid1(VALU_DEP_2)
	v_add_f64 v[2:3], v[4:5], v[2:3]
	v_add_f64 v[4:5], v[14:15], v[10:11]
	s_delay_alu instid0(VALU_DEP_2) | instskip(NEXT) | instid1(VALU_DEP_2)
	v_add_f64 v[2:3], v[6:7], v[2:3]
	v_add_f64 v[6:7], v[4:5], -v[10:11]
	v_cmp_le_f64_e32 vcc_lo, 0.5, v[4:5]
	s_delay_alu instid0(VALU_DEP_3) | instskip(NEXT) | instid1(VALU_DEP_3)
	v_add_f64 v[2:3], v[8:9], v[2:3]
	v_add_f64 v[6:7], v[14:15], -v[6:7]
	v_cndmask_b32_e64 v25, 0, 0x3ff00000, vcc_lo
	v_add_co_ci_u32_e64 v8, s0, 0, v27, vcc_lo
	s_delay_alu instid0(VALU_DEP_2) | instskip(NEXT) | instid1(VALU_DEP_4)
	v_add_f64 v[4:5], v[4:5], -v[24:25]
	v_add_f64 v[2:3], v[2:3], v[6:7]
	s_delay_alu instid0(VALU_DEP_1) | instskip(NEXT) | instid1(VALU_DEP_1)
	v_add_f64 v[6:7], v[4:5], v[2:3]
	v_mul_f64 v[9:10], v[6:7], s[2:3]
	v_add_f64 v[4:5], v[6:7], -v[4:5]
	s_delay_alu instid0(VALU_DEP_2) | instskip(NEXT) | instid1(VALU_DEP_2)
	v_fma_f64 v[11:12], v[6:7], s[2:3], -v[9:10]
	v_add_f64 v[2:3], v[2:3], -v[4:5]
	s_delay_alu instid0(VALU_DEP_2) | instskip(NEXT) | instid1(VALU_DEP_1)
	v_fma_f64 v[4:5], v[6:7], s[4:5], v[11:12]
	v_fma_f64 v[4:5], v[2:3], s[2:3], v[4:5]
	s_delay_alu instid0(VALU_DEP_1) | instskip(NEXT) | instid1(VALU_DEP_1)
	v_add_f64 v[2:3], v[9:10], v[4:5]
	v_add_f64 v[6:7], v[2:3], -v[9:10]
	s_delay_alu instid0(VALU_DEP_1)
	v_add_f64 v[4:5], v[4:5], -v[6:7]
                                        ; implicit-def: $vgpr6_vgpr7
.LBB92_11:
	s_and_not1_saveexec_b32 s0, s1
	s_cbranch_execz .LBB92_13
; %bb.12:
	s_mov_b32 s2, 0x6dc9c883
	s_mov_b32 s3, 0x3fe45f30
	;; [unrolled: 1-line block ×3, first 2 shown]
	s_delay_alu instid0(VALU_DEP_1) | instskip(SKIP_3) | instid1(VALU_DEP_1)
	v_mul_f64 v[2:3], v[6:7], s[2:3]
	s_mov_b32 s2, 0x54442d18
	s_mov_b32 s3, 0xbff921fb
	;; [unrolled: 1-line block ×3, first 2 shown]
	v_rndne_f64_e32 v[8:9], v[2:3]
	s_delay_alu instid0(VALU_DEP_1) | instskip(SKIP_3) | instid1(VALU_DEP_2)
	v_fma_f64 v[2:3], v[8:9], s[2:3], v[6:7]
	v_mul_f64 v[4:5], v[8:9], s[4:5]
	s_mov_b32 s2, 0x252049c0
	s_mov_b32 s3, 0xb97b839a
	v_fma_f64 v[10:11], v[8:9], s[4:5], v[2:3]
	s_delay_alu instid0(VALU_DEP_2) | instskip(SKIP_1) | instid1(VALU_DEP_1)
	v_add_f64 v[6:7], v[2:3], v[4:5]
	s_mov_b32 s5, 0x3c91a626
	v_add_f64 v[2:3], v[2:3], -v[6:7]
	s_delay_alu instid0(VALU_DEP_3) | instskip(NEXT) | instid1(VALU_DEP_2)
	v_add_f64 v[6:7], v[6:7], -v[10:11]
	v_add_f64 v[2:3], v[2:3], v[4:5]
	v_fma_f64 v[4:5], v[8:9], s[4:5], v[4:5]
	s_delay_alu instid0(VALU_DEP_2) | instskip(NEXT) | instid1(VALU_DEP_1)
	v_add_f64 v[2:3], v[6:7], v[2:3]
	v_add_f64 v[2:3], v[2:3], -v[4:5]
	s_delay_alu instid0(VALU_DEP_1) | instskip(SKIP_1) | instid1(VALU_DEP_2)
	v_fma_f64 v[4:5], v[8:9], s[2:3], v[2:3]
	v_cvt_i32_f64_e32 v8, v[8:9]
	v_add_f64 v[2:3], v[10:11], v[4:5]
	s_delay_alu instid0(VALU_DEP_1) | instskip(NEXT) | instid1(VALU_DEP_1)
	v_add_f64 v[6:7], v[2:3], -v[10:11]
	v_add_f64 v[4:5], v[4:5], -v[6:7]
.LBB92_13:
	s_or_b32 exec_lo, exec_lo, s0
	v_mul_f64 v[6:7], v[2:3], v[2:3]
	s_mov_b32 s0, 0xb42fdfa7
	s_mov_b32 s2, 0xf9a43bb8
	;; [unrolled: 1-line block ×4, first 2 shown]
	s_delay_alu instid0(VALU_DEP_2) | instskip(SKIP_1) | instid1(VALU_DEP_3)
	v_mul_f64 v[17:18], v[4:5], 0.5
	v_lshlrev_b64 v[0:1], 2, v[0:1]
	v_fma_f64 v[9:10], v[6:7], s[2:3], s[0:1]
	s_mov_b32 s0, 0x796cde01
	s_mov_b32 s1, 0x3ec71de3
	;; [unrolled: 1-line block ×4, first 2 shown]
	v_mul_f64 v[13:14], v[6:7], 0.5
	v_mul_f64 v[19:20], v[2:3], -v[6:7]
	s_delay_alu instid0(VALU_DEP_3) | instskip(SKIP_2) | instid1(SALU_CYCLE_1)
	v_fma_f64 v[9:10], v[6:7], v[9:10], s[0:1]
	s_mov_b32 s0, 0x46cc5e42
	s_mov_b32 s1, 0xbda907db
	v_fma_f64 v[11:12], v[6:7], s[0:1], s[2:3]
	s_mov_b32 s0, 0x19e83e5c
	s_mov_b32 s1, 0xbf2a01a0
	s_delay_alu instid0(VALU_DEP_4) | instskip(NEXT) | instid1(VALU_DEP_3)
	v_add_f64 v[15:16], -v[13:14], 1.0
	v_fma_f64 v[9:10], v[6:7], v[9:10], s[0:1]
	s_mov_b32 s0, 0xa17f65f6
	s_mov_b32 s1, 0xbe927e4f
	s_delay_alu instid0(VALU_DEP_3) | instid1(SALU_CYCLE_1)
	v_fma_f64 v[11:12], v[6:7], v[11:12], s[0:1]
	s_mov_b32 s0, 0x11110bb3
	s_mov_b32 s1, 0x3f811111
	s_delay_alu instid0(VALU_DEP_3) | instskip(NEXT) | instid1(VALU_DEP_3)
	v_add_f64 v[21:22], -v[15:16], 1.0
	v_fma_f64 v[9:10], v[6:7], v[9:10], s[0:1]
	s_mov_b32 s0, 0x19f4ec90
	s_mov_b32 s1, 0x3efa01a0
	s_delay_alu instid0(VALU_DEP_3) | instid1(SALU_CYCLE_1)
	v_fma_f64 v[11:12], v[6:7], v[11:12], s[0:1]
	s_mov_b32 s0, 0x16c16967
	s_mov_b32 s1, 0xbf56c16c
	s_delay_alu instid0(VALU_DEP_3) | instskip(NEXT) | instid1(VALU_DEP_3)
	v_add_f64 v[13:14], v[21:22], -v[13:14]
	v_fma_f64 v[9:10], v[19:20], v[9:10], v[17:18]
	v_mul_f64 v[17:18], v[6:7], v[6:7]
	s_delay_alu instid0(VALU_DEP_4) | instskip(SKIP_2) | instid1(VALU_DEP_3)
	v_fma_f64 v[11:12], v[6:7], v[11:12], s[0:1]
	s_mov_b32 s1, 0x3fa55555
	s_mov_b32 s0, 0x55555555
	v_fma_f64 v[9:10], v[6:7], v[9:10], -v[4:5]
	v_fma_f64 v[4:5], v[2:3], -v[4:5], v[13:14]
	s_delay_alu instid0(VALU_DEP_3)
	v_fma_f64 v[6:7], v[6:7], v[11:12], s[0:1]
	s_mov_b32 s1, 0xbfc55555
	s_delay_alu instid0(VALU_DEP_3) | instid1(SALU_CYCLE_1)
	v_fma_f64 v[9:10], v[19:20], s[0:1], v[9:10]
	s_delay_alu instid0(VALU_DEP_2) | instskip(NEXT) | instid1(VALU_DEP_2)
	v_fma_f64 v[4:5], v[17:18], v[6:7], v[4:5]
	v_add_f64 v[2:3], v[2:3], -v[9:10]
	s_delay_alu instid0(VALU_DEP_2) | instskip(NEXT) | instid1(VALU_DEP_2)
	v_add_f64 v[4:5], v[15:16], v[4:5]
	v_xor_b32_e32 v3, 0x80000000, v3
	v_and_b32_e32 v6, 1, v8
	s_delay_alu instid0(VALU_DEP_1) | instskip(NEXT) | instid1(VALU_DEP_3)
	v_cmp_eq_u32_e32 vcc_lo, 0, v6
	v_dual_cndmask_b32 v3, v3, v5 :: v_dual_lshlrev_b32 v6, 30, v8
	v_cndmask_b32_e32 v2, v2, v4, vcc_lo
	s_delay_alu instid0(VALU_DEP_2) | instskip(SKIP_2) | instid1(VALU_DEP_3)
	v_and_b32_e32 v4, 0x80000000, v6
	v_add_co_u32 v0, vcc_lo, s16, v0
	v_add_co_ci_u32_e32 v1, vcc_lo, s17, v1, vcc_lo
	v_xor_b32_e32 v3, v3, v4
	s_delay_alu instid0(VALU_DEP_1)
	v_cvt_i32_f64_e32 v2, v[2:3]
	global_store_b32 v[0:1], v2, off
.LBB92_14:
	s_nop 0
	s_sendmsg sendmsg(MSG_DEALLOC_VGPRS)
	s_endpgm
	.section	.rodata,"a",@progbits
	.p2align	6, 0x0
	.amdhsa_kernel _Z11fill_kernelIiZ21hipblaslt_init_deviceIiEv8ABC_dims24hipblaslt_initializationbPT_mmmmmEUlmE3_EvS4_mmT0_
		.amdhsa_group_segment_fixed_size 0
		.amdhsa_private_segment_fixed_size 0
		.amdhsa_kernarg_size 312
		.amdhsa_user_sgpr_count 15
		.amdhsa_user_sgpr_dispatch_ptr 0
		.amdhsa_user_sgpr_queue_ptr 0
		.amdhsa_user_sgpr_kernarg_segment_ptr 1
		.amdhsa_user_sgpr_dispatch_id 0
		.amdhsa_user_sgpr_private_segment_size 0
		.amdhsa_wavefront_size32 1
		.amdhsa_uses_dynamic_stack 0
		.amdhsa_enable_private_segment 0
		.amdhsa_system_sgpr_workgroup_id_x 1
		.amdhsa_system_sgpr_workgroup_id_y 0
		.amdhsa_system_sgpr_workgroup_id_z 0
		.amdhsa_system_sgpr_workgroup_info 0
		.amdhsa_system_vgpr_workitem_id 0
		.amdhsa_next_free_vgpr 33
		.amdhsa_next_free_sgpr 20
		.amdhsa_reserve_vcc 1
		.amdhsa_float_round_mode_32 0
		.amdhsa_float_round_mode_16_64 0
		.amdhsa_float_denorm_mode_32 3
		.amdhsa_float_denorm_mode_16_64 3
		.amdhsa_dx10_clamp 1
		.amdhsa_ieee_mode 1
		.amdhsa_fp16_overflow 0
		.amdhsa_workgroup_processor_mode 1
		.amdhsa_memory_ordered 1
		.amdhsa_forward_progress 0
		.amdhsa_shared_vgpr_count 0
		.amdhsa_exception_fp_ieee_invalid_op 0
		.amdhsa_exception_fp_denorm_src 0
		.amdhsa_exception_fp_ieee_div_zero 0
		.amdhsa_exception_fp_ieee_overflow 0
		.amdhsa_exception_fp_ieee_underflow 0
		.amdhsa_exception_fp_ieee_inexact 0
		.amdhsa_exception_int_div_zero 0
	.end_amdhsa_kernel
	.section	.text._Z11fill_kernelIiZ21hipblaslt_init_deviceIiEv8ABC_dims24hipblaslt_initializationbPT_mmmmmEUlmE3_EvS4_mmT0_,"axG",@progbits,_Z11fill_kernelIiZ21hipblaslt_init_deviceIiEv8ABC_dims24hipblaslt_initializationbPT_mmmmmEUlmE3_EvS4_mmT0_,comdat
.Lfunc_end92:
	.size	_Z11fill_kernelIiZ21hipblaslt_init_deviceIiEv8ABC_dims24hipblaslt_initializationbPT_mmmmmEUlmE3_EvS4_mmT0_, .Lfunc_end92-_Z11fill_kernelIiZ21hipblaslt_init_deviceIiEv8ABC_dims24hipblaslt_initializationbPT_mmmmmEUlmE3_EvS4_mmT0_
                                        ; -- End function
	.section	.AMDGPU.csdata,"",@progbits
; Kernel info:
; codeLenInByte = 3584
; NumSgprs: 22
; NumVgprs: 33
; ScratchSize: 0
; MemoryBound: 0
; FloatMode: 240
; IeeeMode: 1
; LDSByteSize: 0 bytes/workgroup (compile time only)
; SGPRBlocks: 2
; VGPRBlocks: 4
; NumSGPRsForWavesPerEU: 22
; NumVGPRsForWavesPerEU: 33
; Occupancy: 16
; WaveLimiterHint : 0
; COMPUTE_PGM_RSRC2:SCRATCH_EN: 0
; COMPUTE_PGM_RSRC2:USER_SGPR: 15
; COMPUTE_PGM_RSRC2:TRAP_HANDLER: 0
; COMPUTE_PGM_RSRC2:TGID_X_EN: 1
; COMPUTE_PGM_RSRC2:TGID_Y_EN: 0
; COMPUTE_PGM_RSRC2:TGID_Z_EN: 0
; COMPUTE_PGM_RSRC2:TIDIG_COMP_CNT: 0
	.section	.text._Z11fill_kernelIiZ21hipblaslt_init_deviceIiEv8ABC_dims24hipblaslt_initializationbPT_mmmmmEUlmE4_EvS4_mmT0_,"axG",@progbits,_Z11fill_kernelIiZ21hipblaslt_init_deviceIiEv8ABC_dims24hipblaslt_initializationbPT_mmmmmEUlmE4_EvS4_mmT0_,comdat
	.protected	_Z11fill_kernelIiZ21hipblaslt_init_deviceIiEv8ABC_dims24hipblaslt_initializationbPT_mmmmmEUlmE4_EvS4_mmT0_ ; -- Begin function _Z11fill_kernelIiZ21hipblaslt_init_deviceIiEv8ABC_dims24hipblaslt_initializationbPT_mmmmmEUlmE4_EvS4_mmT0_
	.globl	_Z11fill_kernelIiZ21hipblaslt_init_deviceIiEv8ABC_dims24hipblaslt_initializationbPT_mmmmmEUlmE4_EvS4_mmT0_
	.p2align	8
	.type	_Z11fill_kernelIiZ21hipblaslt_init_deviceIiEv8ABC_dims24hipblaslt_initializationbPT_mmmmmEUlmE4_EvS4_mmT0_,@function
_Z11fill_kernelIiZ21hipblaslt_init_deviceIiEv8ABC_dims24hipblaslt_initializationbPT_mmmmmEUlmE4_EvS4_mmT0_: ; @_Z11fill_kernelIiZ21hipblaslt_init_deviceIiEv8ABC_dims24hipblaslt_initializationbPT_mmmmmEUlmE4_EvS4_mmT0_
; %bb.0:
	s_clause 0x1
	s_load_b32 s2, s[0:1], 0x2c
	s_load_b128 s[4:7], s[0:1], 0x0
	s_waitcnt lgkmcnt(0)
	s_and_b32 s2, s2, 0xffff
	s_delay_alu instid0(SALU_CYCLE_1) | instskip(SKIP_2) | instid1(VALU_DEP_1)
	v_mad_u64_u32 v[1:2], null, s15, s2, v[0:1]
	v_mov_b32_e32 v2, 0
	s_mov_b32 s2, exec_lo
	v_cmpx_gt_u64_e64 s[6:7], v[1:2]
	s_cbranch_execz .LBB93_2
; %bb.1:
	s_load_b64 s[0:1], s[0:1], 0x10
	s_mov_b32 s2, 0x19660d
	s_waitcnt lgkmcnt(0)
	v_add_co_u32 v0, s0, v1, s0
	s_delay_alu instid0(VALU_DEP_1) | instskip(SKIP_1) | instid1(VALU_DEP_2)
	v_add_co_ci_u32_e64 v1, null, 0, s1, s0
	s_mov_b32 s0, 0xffe00000
	v_mad_u64_u32 v[2:3], null, v0, s2, 0x3c6ef35f
	s_mov_b32 s1, 0x41efffff
	s_delay_alu instid0(VALU_DEP_1) | instskip(SKIP_1) | instid1(VALU_DEP_2)
	v_mad_u64_u32 v[4:5], null, 0x19660d, v1, v[3:4]
	v_lshlrev_b64 v[0:1], 2, v[0:1]
	v_mov_b32_e32 v3, v4
	s_delay_alu instid0(VALU_DEP_1) | instskip(NEXT) | instid1(VALU_DEP_1)
	v_lshlrev_b64 v[4:5], 13, v[2:3]
	v_xor_b32_e32 v3, v5, v3
	s_delay_alu instid0(VALU_DEP_2) | instskip(NEXT) | instid1(VALU_DEP_1)
	v_xor_b32_e32 v2, v4, v2
	v_lshrrev_b64 v[4:5], 17, v[2:3]
	s_delay_alu instid0(VALU_DEP_1) | instskip(NEXT) | instid1(VALU_DEP_2)
	v_xor_b32_e32 v3, v5, v3
	v_xor_b32_e32 v2, v4, v2
	s_delay_alu instid0(VALU_DEP_1) | instskip(NEXT) | instid1(VALU_DEP_1)
	v_lshlrev_b64 v[4:5], 5, v[2:3]
	v_xor_b32_e32 v3, v5, v3
	s_delay_alu instid0(VALU_DEP_2) | instskip(NEXT) | instid1(VALU_DEP_1)
	v_xor_b32_e32 v2, v4, v2
	v_lshlrev_b64 v[4:5], 13, v[2:3]
	s_delay_alu instid0(VALU_DEP_1) | instskip(NEXT) | instid1(VALU_DEP_2)
	v_xor_b32_e32 v3, v5, v3
	v_xor_b32_e32 v2, v4, v2
	s_delay_alu instid0(VALU_DEP_1) | instskip(NEXT) | instid1(VALU_DEP_1)
	v_lshrrev_b64 v[4:5], 17, v[2:3]
	v_xor_b32_e32 v3, v5, v3
	s_delay_alu instid0(VALU_DEP_2) | instskip(NEXT) | instid1(VALU_DEP_1)
	v_xor_b32_e32 v2, v4, v2
	v_lshlrev_b64 v[4:5], 5, v[2:3]
	s_delay_alu instid0(VALU_DEP_1) | instskip(NEXT) | instid1(VALU_DEP_2)
	v_xor_b32_e32 v3, v5, v3
	v_xor_b32_e32 v2, v4, v2
	s_delay_alu instid0(VALU_DEP_1) | instskip(NEXT) | instid1(VALU_DEP_1)
	v_lshlrev_b64 v[4:5], 13, v[2:3]
	v_xor_b32_e32 v3, v5, v3
	s_delay_alu instid0(VALU_DEP_2) | instskip(NEXT) | instid1(VALU_DEP_1)
	v_xor_b32_e32 v2, v4, v2
	v_alignbit_b32 v3, v3, v2, 17
	s_delay_alu instid0(VALU_DEP_1) | instskip(NEXT) | instid1(VALU_DEP_1)
	v_xor_b32_e32 v2, v3, v2
	v_lshlrev_b32_e32 v3, 5, v2
	s_delay_alu instid0(VALU_DEP_1) | instskip(NEXT) | instid1(VALU_DEP_1)
	v_xor_b32_e32 v2, v3, v2
	v_cvt_f64_u32_e32 v[2:3], v2
	s_delay_alu instid0(VALU_DEP_1) | instskip(NEXT) | instid1(VALU_DEP_1)
	v_div_scale_f64 v[4:5], null, s[0:1], s[0:1], v[2:3]
	v_rcp_f64_e32 v[6:7], v[4:5]
	s_waitcnt_depctr 0xfff
	v_fma_f64 v[8:9], -v[4:5], v[6:7], 1.0
	s_delay_alu instid0(VALU_DEP_1) | instskip(NEXT) | instid1(VALU_DEP_1)
	v_fma_f64 v[6:7], v[6:7], v[8:9], v[6:7]
	v_fma_f64 v[8:9], -v[4:5], v[6:7], 1.0
	s_delay_alu instid0(VALU_DEP_1) | instskip(SKIP_1) | instid1(VALU_DEP_1)
	v_fma_f64 v[6:7], v[6:7], v[8:9], v[6:7]
	v_div_scale_f64 v[8:9], vcc_lo, v[2:3], s[0:1], v[2:3]
	v_mul_f64 v[10:11], v[8:9], v[6:7]
	s_delay_alu instid0(VALU_DEP_1) | instskip(NEXT) | instid1(VALU_DEP_1)
	v_fma_f64 v[4:5], -v[4:5], v[10:11], v[8:9]
	v_div_fmas_f64 v[4:5], v[4:5], v[6:7], v[10:11]
	v_add_co_u32 v0, vcc_lo, s4, v0
	v_add_co_ci_u32_e32 v1, vcc_lo, s5, v1, vcc_lo
	s_delay_alu instid0(VALU_DEP_3) | instskip(NEXT) | instid1(VALU_DEP_1)
	v_div_fixup_f64 v[2:3], v[4:5], s[0:1], v[2:3]
	v_add_f64 v[2:3], v[2:3], -0.5
	s_delay_alu instid0(VALU_DEP_1)
	v_cvt_i32_f64_e32 v2, v[2:3]
	global_store_b32 v[0:1], v2, off
.LBB93_2:
	s_nop 0
	s_sendmsg sendmsg(MSG_DEALLOC_VGPRS)
	s_endpgm
	.section	.rodata,"a",@progbits
	.p2align	6, 0x0
	.amdhsa_kernel _Z11fill_kernelIiZ21hipblaslt_init_deviceIiEv8ABC_dims24hipblaslt_initializationbPT_mmmmmEUlmE4_EvS4_mmT0_
		.amdhsa_group_segment_fixed_size 0
		.amdhsa_private_segment_fixed_size 0
		.amdhsa_kernarg_size 288
		.amdhsa_user_sgpr_count 15
		.amdhsa_user_sgpr_dispatch_ptr 0
		.amdhsa_user_sgpr_queue_ptr 0
		.amdhsa_user_sgpr_kernarg_segment_ptr 1
		.amdhsa_user_sgpr_dispatch_id 0
		.amdhsa_user_sgpr_private_segment_size 0
		.amdhsa_wavefront_size32 1
		.amdhsa_uses_dynamic_stack 0
		.amdhsa_enable_private_segment 0
		.amdhsa_system_sgpr_workgroup_id_x 1
		.amdhsa_system_sgpr_workgroup_id_y 0
		.amdhsa_system_sgpr_workgroup_id_z 0
		.amdhsa_system_sgpr_workgroup_info 0
		.amdhsa_system_vgpr_workitem_id 0
		.amdhsa_next_free_vgpr 12
		.amdhsa_next_free_sgpr 16
		.amdhsa_reserve_vcc 1
		.amdhsa_float_round_mode_32 0
		.amdhsa_float_round_mode_16_64 0
		.amdhsa_float_denorm_mode_32 3
		.amdhsa_float_denorm_mode_16_64 3
		.amdhsa_dx10_clamp 1
		.amdhsa_ieee_mode 1
		.amdhsa_fp16_overflow 0
		.amdhsa_workgroup_processor_mode 1
		.amdhsa_memory_ordered 1
		.amdhsa_forward_progress 0
		.amdhsa_shared_vgpr_count 0
		.amdhsa_exception_fp_ieee_invalid_op 0
		.amdhsa_exception_fp_denorm_src 0
		.amdhsa_exception_fp_ieee_div_zero 0
		.amdhsa_exception_fp_ieee_overflow 0
		.amdhsa_exception_fp_ieee_underflow 0
		.amdhsa_exception_fp_ieee_inexact 0
		.amdhsa_exception_int_div_zero 0
	.end_amdhsa_kernel
	.section	.text._Z11fill_kernelIiZ21hipblaslt_init_deviceIiEv8ABC_dims24hipblaslt_initializationbPT_mmmmmEUlmE4_EvS4_mmT0_,"axG",@progbits,_Z11fill_kernelIiZ21hipblaslt_init_deviceIiEv8ABC_dims24hipblaslt_initializationbPT_mmmmmEUlmE4_EvS4_mmT0_,comdat
.Lfunc_end93:
	.size	_Z11fill_kernelIiZ21hipblaslt_init_deviceIiEv8ABC_dims24hipblaslt_initializationbPT_mmmmmEUlmE4_EvS4_mmT0_, .Lfunc_end93-_Z11fill_kernelIiZ21hipblaslt_init_deviceIiEv8ABC_dims24hipblaslt_initializationbPT_mmmmmEUlmE4_EvS4_mmT0_
                                        ; -- End function
	.section	.AMDGPU.csdata,"",@progbits
; Kernel info:
; codeLenInByte = 504
; NumSgprs: 18
; NumVgprs: 12
; ScratchSize: 0
; MemoryBound: 0
; FloatMode: 240
; IeeeMode: 1
; LDSByteSize: 0 bytes/workgroup (compile time only)
; SGPRBlocks: 2
; VGPRBlocks: 1
; NumSGPRsForWavesPerEU: 18
; NumVGPRsForWavesPerEU: 12
; Occupancy: 16
; WaveLimiterHint : 0
; COMPUTE_PGM_RSRC2:SCRATCH_EN: 0
; COMPUTE_PGM_RSRC2:USER_SGPR: 15
; COMPUTE_PGM_RSRC2:TRAP_HANDLER: 0
; COMPUTE_PGM_RSRC2:TGID_X_EN: 1
; COMPUTE_PGM_RSRC2:TGID_Y_EN: 0
; COMPUTE_PGM_RSRC2:TGID_Z_EN: 0
; COMPUTE_PGM_RSRC2:TIDIG_COMP_CNT: 0
	.section	.text._Z11fill_kernelIiZ21hipblaslt_init_deviceIiEv8ABC_dims24hipblaslt_initializationbPT_mmmmmEUlmE5_EvS4_mmT0_,"axG",@progbits,_Z11fill_kernelIiZ21hipblaslt_init_deviceIiEv8ABC_dims24hipblaslt_initializationbPT_mmmmmEUlmE5_EvS4_mmT0_,comdat
	.protected	_Z11fill_kernelIiZ21hipblaslt_init_deviceIiEv8ABC_dims24hipblaslt_initializationbPT_mmmmmEUlmE5_EvS4_mmT0_ ; -- Begin function _Z11fill_kernelIiZ21hipblaslt_init_deviceIiEv8ABC_dims24hipblaslt_initializationbPT_mmmmmEUlmE5_EvS4_mmT0_
	.globl	_Z11fill_kernelIiZ21hipblaslt_init_deviceIiEv8ABC_dims24hipblaslt_initializationbPT_mmmmmEUlmE5_EvS4_mmT0_
	.p2align	8
	.type	_Z11fill_kernelIiZ21hipblaslt_init_deviceIiEv8ABC_dims24hipblaslt_initializationbPT_mmmmmEUlmE5_EvS4_mmT0_,@function
_Z11fill_kernelIiZ21hipblaslt_init_deviceIiEv8ABC_dims24hipblaslt_initializationbPT_mmmmmEUlmE5_EvS4_mmT0_: ; @_Z11fill_kernelIiZ21hipblaslt_init_deviceIiEv8ABC_dims24hipblaslt_initializationbPT_mmmmmEUlmE5_EvS4_mmT0_
; %bb.0:
	s_clause 0x1
	s_load_b32 s2, s[0:1], 0x2c
	s_load_b128 s[4:7], s[0:1], 0x0
	s_waitcnt lgkmcnt(0)
	s_and_b32 s2, s2, 0xffff
	s_delay_alu instid0(SALU_CYCLE_1) | instskip(SKIP_2) | instid1(VALU_DEP_1)
	v_mad_u64_u32 v[1:2], null, s15, s2, v[0:1]
	v_mov_b32_e32 v2, 0
	s_mov_b32 s2, exec_lo
	v_cmpx_gt_u64_e64 s[6:7], v[1:2]
	s_cbranch_execz .LBB94_2
; %bb.1:
	s_load_b64 s[0:1], s[0:1], 0x10
	v_lshlrev_b64 v[0:1], 2, v[1:2]
	v_mov_b32_e32 v2, 0xff00
	s_waitcnt lgkmcnt(0)
	s_lshl_b64 s[0:1], s[0:1], 2
	s_delay_alu instid0(SALU_CYCLE_1)
	s_add_u32 s0, s0, s4
	s_addc_u32 s1, s1, s5
	v_add_co_u32 v0, vcc_lo, s0, v0
	v_add_co_ci_u32_e32 v1, vcc_lo, s1, v1, vcc_lo
	global_store_b32 v[0:1], v2, off
.LBB94_2:
	s_nop 0
	s_sendmsg sendmsg(MSG_DEALLOC_VGPRS)
	s_endpgm
	.section	.rodata,"a",@progbits
	.p2align	6, 0x0
	.amdhsa_kernel _Z11fill_kernelIiZ21hipblaslt_init_deviceIiEv8ABC_dims24hipblaslt_initializationbPT_mmmmmEUlmE5_EvS4_mmT0_
		.amdhsa_group_segment_fixed_size 0
		.amdhsa_private_segment_fixed_size 0
		.amdhsa_kernarg_size 288
		.amdhsa_user_sgpr_count 15
		.amdhsa_user_sgpr_dispatch_ptr 0
		.amdhsa_user_sgpr_queue_ptr 0
		.amdhsa_user_sgpr_kernarg_segment_ptr 1
		.amdhsa_user_sgpr_dispatch_id 0
		.amdhsa_user_sgpr_private_segment_size 0
		.amdhsa_wavefront_size32 1
		.amdhsa_uses_dynamic_stack 0
		.amdhsa_enable_private_segment 0
		.amdhsa_system_sgpr_workgroup_id_x 1
		.amdhsa_system_sgpr_workgroup_id_y 0
		.amdhsa_system_sgpr_workgroup_id_z 0
		.amdhsa_system_sgpr_workgroup_info 0
		.amdhsa_system_vgpr_workitem_id 0
		.amdhsa_next_free_vgpr 3
		.amdhsa_next_free_sgpr 16
		.amdhsa_reserve_vcc 1
		.amdhsa_float_round_mode_32 0
		.amdhsa_float_round_mode_16_64 0
		.amdhsa_float_denorm_mode_32 3
		.amdhsa_float_denorm_mode_16_64 3
		.amdhsa_dx10_clamp 1
		.amdhsa_ieee_mode 1
		.amdhsa_fp16_overflow 0
		.amdhsa_workgroup_processor_mode 1
		.amdhsa_memory_ordered 1
		.amdhsa_forward_progress 0
		.amdhsa_shared_vgpr_count 0
		.amdhsa_exception_fp_ieee_invalid_op 0
		.amdhsa_exception_fp_denorm_src 0
		.amdhsa_exception_fp_ieee_div_zero 0
		.amdhsa_exception_fp_ieee_overflow 0
		.amdhsa_exception_fp_ieee_underflow 0
		.amdhsa_exception_fp_ieee_inexact 0
		.amdhsa_exception_int_div_zero 0
	.end_amdhsa_kernel
	.section	.text._Z11fill_kernelIiZ21hipblaslt_init_deviceIiEv8ABC_dims24hipblaslt_initializationbPT_mmmmmEUlmE5_EvS4_mmT0_,"axG",@progbits,_Z11fill_kernelIiZ21hipblaslt_init_deviceIiEv8ABC_dims24hipblaslt_initializationbPT_mmmmmEUlmE5_EvS4_mmT0_,comdat
.Lfunc_end94:
	.size	_Z11fill_kernelIiZ21hipblaslt_init_deviceIiEv8ABC_dims24hipblaslt_initializationbPT_mmmmmEUlmE5_EvS4_mmT0_, .Lfunc_end94-_Z11fill_kernelIiZ21hipblaslt_init_deviceIiEv8ABC_dims24hipblaslt_initializationbPT_mmmmmEUlmE5_EvS4_mmT0_
                                        ; -- End function
	.section	.AMDGPU.csdata,"",@progbits
; Kernel info:
; codeLenInByte = 140
; NumSgprs: 18
; NumVgprs: 3
; ScratchSize: 0
; MemoryBound: 0
; FloatMode: 240
; IeeeMode: 1
; LDSByteSize: 0 bytes/workgroup (compile time only)
; SGPRBlocks: 2
; VGPRBlocks: 0
; NumSGPRsForWavesPerEU: 18
; NumVGPRsForWavesPerEU: 3
; Occupancy: 16
; WaveLimiterHint : 0
; COMPUTE_PGM_RSRC2:SCRATCH_EN: 0
; COMPUTE_PGM_RSRC2:USER_SGPR: 15
; COMPUTE_PGM_RSRC2:TRAP_HANDLER: 0
; COMPUTE_PGM_RSRC2:TGID_X_EN: 1
; COMPUTE_PGM_RSRC2:TGID_Y_EN: 0
; COMPUTE_PGM_RSRC2:TGID_Z_EN: 0
; COMPUTE_PGM_RSRC2:TIDIG_COMP_CNT: 0
	.section	.text._Z11fill_kernelIiZ21hipblaslt_init_deviceIiEv8ABC_dims24hipblaslt_initializationbPT_mmmmmEUlmE6_EvS4_mmT0_,"axG",@progbits,_Z11fill_kernelIiZ21hipblaslt_init_deviceIiEv8ABC_dims24hipblaslt_initializationbPT_mmmmmEUlmE6_EvS4_mmT0_,comdat
	.protected	_Z11fill_kernelIiZ21hipblaslt_init_deviceIiEv8ABC_dims24hipblaslt_initializationbPT_mmmmmEUlmE6_EvS4_mmT0_ ; -- Begin function _Z11fill_kernelIiZ21hipblaslt_init_deviceIiEv8ABC_dims24hipblaslt_initializationbPT_mmmmmEUlmE6_EvS4_mmT0_
	.globl	_Z11fill_kernelIiZ21hipblaslt_init_deviceIiEv8ABC_dims24hipblaslt_initializationbPT_mmmmmEUlmE6_EvS4_mmT0_
	.p2align	8
	.type	_Z11fill_kernelIiZ21hipblaslt_init_deviceIiEv8ABC_dims24hipblaslt_initializationbPT_mmmmmEUlmE6_EvS4_mmT0_,@function
_Z11fill_kernelIiZ21hipblaslt_init_deviceIiEv8ABC_dims24hipblaslt_initializationbPT_mmmmmEUlmE6_EvS4_mmT0_: ; @_Z11fill_kernelIiZ21hipblaslt_init_deviceIiEv8ABC_dims24hipblaslt_initializationbPT_mmmmmEUlmE6_EvS4_mmT0_
; %bb.0:
	s_clause 0x1
	s_load_b32 s2, s[0:1], 0x2c
	s_load_b128 s[4:7], s[0:1], 0x0
	s_waitcnt lgkmcnt(0)
	s_and_b32 s2, s2, 0xffff
	s_delay_alu instid0(SALU_CYCLE_1) | instskip(SKIP_2) | instid1(VALU_DEP_1)
	v_mad_u64_u32 v[1:2], null, s15, s2, v[0:1]
	v_mov_b32_e32 v2, 0
	s_mov_b32 s2, exec_lo
	v_cmpx_gt_u64_e64 s[6:7], v[1:2]
	s_cbranch_execz .LBB95_2
; %bb.1:
	s_load_b64 s[0:1], s[0:1], 0x10
	v_lshlrev_b64 v[0:1], 2, v[1:2]
	s_waitcnt lgkmcnt(0)
	s_lshl_b64 s[0:1], s[0:1], 2
	s_delay_alu instid0(SALU_CYCLE_1) | instskip(SKIP_1) | instid1(VALU_DEP_1)
	s_add_u32 s0, s0, s4
	s_addc_u32 s1, s1, s5
	v_add_co_u32 v0, vcc_lo, s0, v0
	v_add_co_ci_u32_e32 v1, vcc_lo, s1, v1, vcc_lo
	global_store_b32 v[0:1], v2, off
.LBB95_2:
	s_nop 0
	s_sendmsg sendmsg(MSG_DEALLOC_VGPRS)
	s_endpgm
	.section	.rodata,"a",@progbits
	.p2align	6, 0x0
	.amdhsa_kernel _Z11fill_kernelIiZ21hipblaslt_init_deviceIiEv8ABC_dims24hipblaslt_initializationbPT_mmmmmEUlmE6_EvS4_mmT0_
		.amdhsa_group_segment_fixed_size 0
		.amdhsa_private_segment_fixed_size 0
		.amdhsa_kernarg_size 288
		.amdhsa_user_sgpr_count 15
		.amdhsa_user_sgpr_dispatch_ptr 0
		.amdhsa_user_sgpr_queue_ptr 0
		.amdhsa_user_sgpr_kernarg_segment_ptr 1
		.amdhsa_user_sgpr_dispatch_id 0
		.amdhsa_user_sgpr_private_segment_size 0
		.amdhsa_wavefront_size32 1
		.amdhsa_uses_dynamic_stack 0
		.amdhsa_enable_private_segment 0
		.amdhsa_system_sgpr_workgroup_id_x 1
		.amdhsa_system_sgpr_workgroup_id_y 0
		.amdhsa_system_sgpr_workgroup_id_z 0
		.amdhsa_system_sgpr_workgroup_info 0
		.amdhsa_system_vgpr_workitem_id 0
		.amdhsa_next_free_vgpr 3
		.amdhsa_next_free_sgpr 16
		.amdhsa_reserve_vcc 1
		.amdhsa_float_round_mode_32 0
		.amdhsa_float_round_mode_16_64 0
		.amdhsa_float_denorm_mode_32 3
		.amdhsa_float_denorm_mode_16_64 3
		.amdhsa_dx10_clamp 1
		.amdhsa_ieee_mode 1
		.amdhsa_fp16_overflow 0
		.amdhsa_workgroup_processor_mode 1
		.amdhsa_memory_ordered 1
		.amdhsa_forward_progress 0
		.amdhsa_shared_vgpr_count 0
		.amdhsa_exception_fp_ieee_invalid_op 0
		.amdhsa_exception_fp_denorm_src 0
		.amdhsa_exception_fp_ieee_div_zero 0
		.amdhsa_exception_fp_ieee_overflow 0
		.amdhsa_exception_fp_ieee_underflow 0
		.amdhsa_exception_fp_ieee_inexact 0
		.amdhsa_exception_int_div_zero 0
	.end_amdhsa_kernel
	.section	.text._Z11fill_kernelIiZ21hipblaslt_init_deviceIiEv8ABC_dims24hipblaslt_initializationbPT_mmmmmEUlmE6_EvS4_mmT0_,"axG",@progbits,_Z11fill_kernelIiZ21hipblaslt_init_deviceIiEv8ABC_dims24hipblaslt_initializationbPT_mmmmmEUlmE6_EvS4_mmT0_,comdat
.Lfunc_end95:
	.size	_Z11fill_kernelIiZ21hipblaslt_init_deviceIiEv8ABC_dims24hipblaslt_initializationbPT_mmmmmEUlmE6_EvS4_mmT0_, .Lfunc_end95-_Z11fill_kernelIiZ21hipblaslt_init_deviceIiEv8ABC_dims24hipblaslt_initializationbPT_mmmmmEUlmE6_EvS4_mmT0_
                                        ; -- End function
	.section	.AMDGPU.csdata,"",@progbits
; Kernel info:
; codeLenInByte = 132
; NumSgprs: 18
; NumVgprs: 3
; ScratchSize: 0
; MemoryBound: 0
; FloatMode: 240
; IeeeMode: 1
; LDSByteSize: 0 bytes/workgroup (compile time only)
; SGPRBlocks: 2
; VGPRBlocks: 0
; NumSGPRsForWavesPerEU: 18
; NumVGPRsForWavesPerEU: 3
; Occupancy: 16
; WaveLimiterHint : 0
; COMPUTE_PGM_RSRC2:SCRATCH_EN: 0
; COMPUTE_PGM_RSRC2:USER_SGPR: 15
; COMPUTE_PGM_RSRC2:TRAP_HANDLER: 0
; COMPUTE_PGM_RSRC2:TGID_X_EN: 1
; COMPUTE_PGM_RSRC2:TGID_Y_EN: 0
; COMPUTE_PGM_RSRC2:TGID_Z_EN: 0
; COMPUTE_PGM_RSRC2:TIDIG_COMP_CNT: 0
	.section	.text._Z11fill_kernelIiZ21hipblaslt_init_deviceIiEv8ABC_dims24hipblaslt_initializationbPT_mmmmmEUlmE7_EvS4_mmT0_,"axG",@progbits,_Z11fill_kernelIiZ21hipblaslt_init_deviceIiEv8ABC_dims24hipblaslt_initializationbPT_mmmmmEUlmE7_EvS4_mmT0_,comdat
	.protected	_Z11fill_kernelIiZ21hipblaslt_init_deviceIiEv8ABC_dims24hipblaslt_initializationbPT_mmmmmEUlmE7_EvS4_mmT0_ ; -- Begin function _Z11fill_kernelIiZ21hipblaslt_init_deviceIiEv8ABC_dims24hipblaslt_initializationbPT_mmmmmEUlmE7_EvS4_mmT0_
	.globl	_Z11fill_kernelIiZ21hipblaslt_init_deviceIiEv8ABC_dims24hipblaslt_initializationbPT_mmmmmEUlmE7_EvS4_mmT0_
	.p2align	8
	.type	_Z11fill_kernelIiZ21hipblaslt_init_deviceIiEv8ABC_dims24hipblaslt_initializationbPT_mmmmmEUlmE7_EvS4_mmT0_,@function
_Z11fill_kernelIiZ21hipblaslt_init_deviceIiEv8ABC_dims24hipblaslt_initializationbPT_mmmmmEUlmE7_EvS4_mmT0_: ; @_Z11fill_kernelIiZ21hipblaslt_init_deviceIiEv8ABC_dims24hipblaslt_initializationbPT_mmmmmEUlmE7_EvS4_mmT0_
; %bb.0:
	s_clause 0x1
	s_load_b32 s2, s[0:1], 0x2c
	s_load_b128 s[4:7], s[0:1], 0x0
	s_waitcnt lgkmcnt(0)
	s_and_b32 s2, s2, 0xffff
	s_delay_alu instid0(SALU_CYCLE_1) | instskip(SKIP_2) | instid1(VALU_DEP_1)
	v_mad_u64_u32 v[1:2], null, s15, s2, v[0:1]
	v_mov_b32_e32 v2, 0
	s_mov_b32 s2, exec_lo
	v_cmpx_gt_u64_e64 s[6:7], v[1:2]
	s_cbranch_execz .LBB96_2
; %bb.1:
	s_load_b64 s[0:1], s[0:1], 0x10
	s_mov_b32 s2, 0x19660d
	s_waitcnt lgkmcnt(0)
	v_add_co_u32 v0, s0, v1, s0
	s_delay_alu instid0(VALU_DEP_1) | instskip(NEXT) | instid1(VALU_DEP_2)
	v_add_co_ci_u32_e64 v1, null, 0, s1, s0
	v_mad_u64_u32 v[2:3], null, v0, s2, 0x3c6ef35f
	s_delay_alu instid0(VALU_DEP_1) | instskip(SKIP_1) | instid1(VALU_DEP_1)
	v_mad_u64_u32 v[4:5], null, 0x19660d, v1, v[3:4]
	v_lshlrev_b64 v[0:1], 2, v[0:1]
	v_add_co_u32 v0, vcc_lo, s4, v0
	s_delay_alu instid0(VALU_DEP_3) | instskip(NEXT) | instid1(VALU_DEP_3)
	v_mov_b32_e32 v3, v4
	v_add_co_ci_u32_e32 v1, vcc_lo, s5, v1, vcc_lo
	s_delay_alu instid0(VALU_DEP_2) | instskip(NEXT) | instid1(VALU_DEP_1)
	v_lshlrev_b64 v[4:5], 13, v[2:3]
	v_xor_b32_e32 v3, v5, v3
	s_delay_alu instid0(VALU_DEP_2) | instskip(NEXT) | instid1(VALU_DEP_1)
	v_xor_b32_e32 v2, v4, v2
	v_lshrrev_b64 v[4:5], 17, v[2:3]
	s_delay_alu instid0(VALU_DEP_1) | instskip(NEXT) | instid1(VALU_DEP_2)
	v_xor_b32_e32 v3, v5, v3
	v_xor_b32_e32 v2, v4, v2
	s_delay_alu instid0(VALU_DEP_1) | instskip(NEXT) | instid1(VALU_DEP_1)
	v_lshlrev_b64 v[4:5], 5, v[2:3]
	v_xor_b32_e32 v3, v5, v3
	s_delay_alu instid0(VALU_DEP_2) | instskip(NEXT) | instid1(VALU_DEP_1)
	v_xor_b32_e32 v2, v4, v2
	v_lshlrev_b64 v[4:5], 13, v[2:3]
	s_delay_alu instid0(VALU_DEP_1) | instskip(NEXT) | instid1(VALU_DEP_2)
	v_xor_b32_e32 v3, v5, v3
	v_xor_b32_e32 v2, v4, v2
	s_delay_alu instid0(VALU_DEP_1) | instskip(NEXT) | instid1(VALU_DEP_1)
	v_lshrrev_b64 v[4:5], 17, v[2:3]
	v_xor_b32_e32 v3, v5, v3
	s_delay_alu instid0(VALU_DEP_2) | instskip(NEXT) | instid1(VALU_DEP_1)
	v_xor_b32_e32 v2, v4, v2
	v_lshlrev_b64 v[4:5], 5, v[2:3]
	s_delay_alu instid0(VALU_DEP_1) | instskip(NEXT) | instid1(VALU_DEP_2)
	v_xor_b32_e32 v3, v5, v3
	v_xor_b32_e32 v2, v4, v2
	s_delay_alu instid0(VALU_DEP_1) | instskip(NEXT) | instid1(VALU_DEP_1)
	v_lshlrev_b64 v[4:5], 13, v[2:3]
	v_xor_b32_e32 v3, v5, v3
	s_delay_alu instid0(VALU_DEP_2) | instskip(NEXT) | instid1(VALU_DEP_1)
	v_xor_b32_e32 v2, v4, v2
	v_alignbit_b32 v3, v3, v2, 17
	s_delay_alu instid0(VALU_DEP_1) | instskip(NEXT) | instid1(VALU_DEP_1)
	v_xor_b32_e32 v2, v3, v2
	v_lshlrev_b32_e32 v3, 5, v2
	s_delay_alu instid0(VALU_DEP_1) | instskip(NEXT) | instid1(VALU_DEP_1)
	v_xor_b32_e32 v2, v3, v2
	v_mul_hi_u32 v3, 0xcccccccd, v2
	s_delay_alu instid0(VALU_DEP_1) | instskip(NEXT) | instid1(VALU_DEP_1)
	v_lshrrev_b32_e32 v3, 3, v3
	v_mul_lo_u32 v3, v3, 10
	s_delay_alu instid0(VALU_DEP_1) | instskip(NEXT) | instid1(VALU_DEP_1)
	v_sub_nc_u32_e32 v2, v2, v3
	v_add_nc_u32_e32 v2, 1, v2
	global_store_b32 v[0:1], v2, off
.LBB96_2:
	s_nop 0
	s_sendmsg sendmsg(MSG_DEALLOC_VGPRS)
	s_endpgm
	.section	.rodata,"a",@progbits
	.p2align	6, 0x0
	.amdhsa_kernel _Z11fill_kernelIiZ21hipblaslt_init_deviceIiEv8ABC_dims24hipblaslt_initializationbPT_mmmmmEUlmE7_EvS4_mmT0_
		.amdhsa_group_segment_fixed_size 0
		.amdhsa_private_segment_fixed_size 0
		.amdhsa_kernarg_size 288
		.amdhsa_user_sgpr_count 15
		.amdhsa_user_sgpr_dispatch_ptr 0
		.amdhsa_user_sgpr_queue_ptr 0
		.amdhsa_user_sgpr_kernarg_segment_ptr 1
		.amdhsa_user_sgpr_dispatch_id 0
		.amdhsa_user_sgpr_private_segment_size 0
		.amdhsa_wavefront_size32 1
		.amdhsa_uses_dynamic_stack 0
		.amdhsa_enable_private_segment 0
		.amdhsa_system_sgpr_workgroup_id_x 1
		.amdhsa_system_sgpr_workgroup_id_y 0
		.amdhsa_system_sgpr_workgroup_id_z 0
		.amdhsa_system_sgpr_workgroup_info 0
		.amdhsa_system_vgpr_workitem_id 0
		.amdhsa_next_free_vgpr 6
		.amdhsa_next_free_sgpr 16
		.amdhsa_reserve_vcc 1
		.amdhsa_float_round_mode_32 0
		.amdhsa_float_round_mode_16_64 0
		.amdhsa_float_denorm_mode_32 3
		.amdhsa_float_denorm_mode_16_64 3
		.amdhsa_dx10_clamp 1
		.amdhsa_ieee_mode 1
		.amdhsa_fp16_overflow 0
		.amdhsa_workgroup_processor_mode 1
		.amdhsa_memory_ordered 1
		.amdhsa_forward_progress 0
		.amdhsa_shared_vgpr_count 0
		.amdhsa_exception_fp_ieee_invalid_op 0
		.amdhsa_exception_fp_denorm_src 0
		.amdhsa_exception_fp_ieee_div_zero 0
		.amdhsa_exception_fp_ieee_overflow 0
		.amdhsa_exception_fp_ieee_underflow 0
		.amdhsa_exception_fp_ieee_inexact 0
		.amdhsa_exception_int_div_zero 0
	.end_amdhsa_kernel
	.section	.text._Z11fill_kernelIiZ21hipblaslt_init_deviceIiEv8ABC_dims24hipblaslt_initializationbPT_mmmmmEUlmE7_EvS4_mmT0_,"axG",@progbits,_Z11fill_kernelIiZ21hipblaslt_init_deviceIiEv8ABC_dims24hipblaslt_initializationbPT_mmmmmEUlmE7_EvS4_mmT0_,comdat
.Lfunc_end96:
	.size	_Z11fill_kernelIiZ21hipblaslt_init_deviceIiEv8ABC_dims24hipblaslt_initializationbPT_mmmmmEUlmE7_EvS4_mmT0_, .Lfunc_end96-_Z11fill_kernelIiZ21hipblaslt_init_deviceIiEv8ABC_dims24hipblaslt_initializationbPT_mmmmmEUlmE7_EvS4_mmT0_
                                        ; -- End function
	.section	.AMDGPU.csdata,"",@progbits
; Kernel info:
; codeLenInByte = 404
; NumSgprs: 18
; NumVgprs: 6
; ScratchSize: 0
; MemoryBound: 0
; FloatMode: 240
; IeeeMode: 1
; LDSByteSize: 0 bytes/workgroup (compile time only)
; SGPRBlocks: 2
; VGPRBlocks: 0
; NumSGPRsForWavesPerEU: 18
; NumVGPRsForWavesPerEU: 6
; Occupancy: 16
; WaveLimiterHint : 0
; COMPUTE_PGM_RSRC2:SCRATCH_EN: 0
; COMPUTE_PGM_RSRC2:USER_SGPR: 15
; COMPUTE_PGM_RSRC2:TRAP_HANDLER: 0
; COMPUTE_PGM_RSRC2:TGID_X_EN: 1
; COMPUTE_PGM_RSRC2:TGID_Y_EN: 0
; COMPUTE_PGM_RSRC2:TGID_Z_EN: 0
; COMPUTE_PGM_RSRC2:TIDIG_COMP_CNT: 0
	.section	.text._Z11fill_kernelIiZ21hipblaslt_init_deviceIiEv8ABC_dims24hipblaslt_initializationbPT_mmmmmEUlmE8_EvS4_mmT0_,"axG",@progbits,_Z11fill_kernelIiZ21hipblaslt_init_deviceIiEv8ABC_dims24hipblaslt_initializationbPT_mmmmmEUlmE8_EvS4_mmT0_,comdat
	.protected	_Z11fill_kernelIiZ21hipblaslt_init_deviceIiEv8ABC_dims24hipblaslt_initializationbPT_mmmmmEUlmE8_EvS4_mmT0_ ; -- Begin function _Z11fill_kernelIiZ21hipblaslt_init_deviceIiEv8ABC_dims24hipblaslt_initializationbPT_mmmmmEUlmE8_EvS4_mmT0_
	.globl	_Z11fill_kernelIiZ21hipblaslt_init_deviceIiEv8ABC_dims24hipblaslt_initializationbPT_mmmmmEUlmE8_EvS4_mmT0_
	.p2align	8
	.type	_Z11fill_kernelIiZ21hipblaslt_init_deviceIiEv8ABC_dims24hipblaslt_initializationbPT_mmmmmEUlmE8_EvS4_mmT0_,@function
_Z11fill_kernelIiZ21hipblaslt_init_deviceIiEv8ABC_dims24hipblaslt_initializationbPT_mmmmmEUlmE8_EvS4_mmT0_: ; @_Z11fill_kernelIiZ21hipblaslt_init_deviceIiEv8ABC_dims24hipblaslt_initializationbPT_mmmmmEUlmE8_EvS4_mmT0_
; %bb.0:
	s_clause 0x1
	s_load_b32 s2, s[0:1], 0x2c
	s_load_b128 s[4:7], s[0:1], 0x0
	s_waitcnt lgkmcnt(0)
	s_and_b32 s2, s2, 0xffff
	s_delay_alu instid0(SALU_CYCLE_1) | instskip(SKIP_2) | instid1(VALU_DEP_1)
	v_mad_u64_u32 v[1:2], null, s15, s2, v[0:1]
	v_mov_b32_e32 v2, 0
	s_mov_b32 s2, exec_lo
	v_cmpx_gt_u64_e64 s[6:7], v[1:2]
	s_cbranch_execz .LBB97_2
; %bb.1:
	s_load_b64 s[0:1], s[0:1], 0x10
	v_lshlrev_b64 v[0:1], 2, v[1:2]
	s_waitcnt lgkmcnt(0)
	s_lshl_b64 s[0:1], s[0:1], 2
	s_delay_alu instid0(SALU_CYCLE_1) | instskip(SKIP_1) | instid1(VALU_DEP_1)
	s_add_u32 s0, s0, s4
	s_addc_u32 s1, s1, s5
	v_add_co_u32 v0, vcc_lo, s0, v0
	v_add_co_ci_u32_e32 v1, vcc_lo, s1, v1, vcc_lo
	global_store_b32 v[0:1], v2, off
.LBB97_2:
	s_nop 0
	s_sendmsg sendmsg(MSG_DEALLOC_VGPRS)
	s_endpgm
	.section	.rodata,"a",@progbits
	.p2align	6, 0x0
	.amdhsa_kernel _Z11fill_kernelIiZ21hipblaslt_init_deviceIiEv8ABC_dims24hipblaslt_initializationbPT_mmmmmEUlmE8_EvS4_mmT0_
		.amdhsa_group_segment_fixed_size 0
		.amdhsa_private_segment_fixed_size 0
		.amdhsa_kernarg_size 288
		.amdhsa_user_sgpr_count 15
		.amdhsa_user_sgpr_dispatch_ptr 0
		.amdhsa_user_sgpr_queue_ptr 0
		.amdhsa_user_sgpr_kernarg_segment_ptr 1
		.amdhsa_user_sgpr_dispatch_id 0
		.amdhsa_user_sgpr_private_segment_size 0
		.amdhsa_wavefront_size32 1
		.amdhsa_uses_dynamic_stack 0
		.amdhsa_enable_private_segment 0
		.amdhsa_system_sgpr_workgroup_id_x 1
		.amdhsa_system_sgpr_workgroup_id_y 0
		.amdhsa_system_sgpr_workgroup_id_z 0
		.amdhsa_system_sgpr_workgroup_info 0
		.amdhsa_system_vgpr_workitem_id 0
		.amdhsa_next_free_vgpr 3
		.amdhsa_next_free_sgpr 16
		.amdhsa_reserve_vcc 1
		.amdhsa_float_round_mode_32 0
		.amdhsa_float_round_mode_16_64 0
		.amdhsa_float_denorm_mode_32 3
		.amdhsa_float_denorm_mode_16_64 3
		.amdhsa_dx10_clamp 1
		.amdhsa_ieee_mode 1
		.amdhsa_fp16_overflow 0
		.amdhsa_workgroup_processor_mode 1
		.amdhsa_memory_ordered 1
		.amdhsa_forward_progress 0
		.amdhsa_shared_vgpr_count 0
		.amdhsa_exception_fp_ieee_invalid_op 0
		.amdhsa_exception_fp_denorm_src 0
		.amdhsa_exception_fp_ieee_div_zero 0
		.amdhsa_exception_fp_ieee_overflow 0
		.amdhsa_exception_fp_ieee_underflow 0
		.amdhsa_exception_fp_ieee_inexact 0
		.amdhsa_exception_int_div_zero 0
	.end_amdhsa_kernel
	.section	.text._Z11fill_kernelIiZ21hipblaslt_init_deviceIiEv8ABC_dims24hipblaslt_initializationbPT_mmmmmEUlmE8_EvS4_mmT0_,"axG",@progbits,_Z11fill_kernelIiZ21hipblaslt_init_deviceIiEv8ABC_dims24hipblaslt_initializationbPT_mmmmmEUlmE8_EvS4_mmT0_,comdat
.Lfunc_end97:
	.size	_Z11fill_kernelIiZ21hipblaslt_init_deviceIiEv8ABC_dims24hipblaslt_initializationbPT_mmmmmEUlmE8_EvS4_mmT0_, .Lfunc_end97-_Z11fill_kernelIiZ21hipblaslt_init_deviceIiEv8ABC_dims24hipblaslt_initializationbPT_mmmmmEUlmE8_EvS4_mmT0_
                                        ; -- End function
	.section	.AMDGPU.csdata,"",@progbits
; Kernel info:
; codeLenInByte = 132
; NumSgprs: 18
; NumVgprs: 3
; ScratchSize: 0
; MemoryBound: 0
; FloatMode: 240
; IeeeMode: 1
; LDSByteSize: 0 bytes/workgroup (compile time only)
; SGPRBlocks: 2
; VGPRBlocks: 0
; NumSGPRsForWavesPerEU: 18
; NumVGPRsForWavesPerEU: 3
; Occupancy: 16
; WaveLimiterHint : 0
; COMPUTE_PGM_RSRC2:SCRATCH_EN: 0
; COMPUTE_PGM_RSRC2:USER_SGPR: 15
; COMPUTE_PGM_RSRC2:TRAP_HANDLER: 0
; COMPUTE_PGM_RSRC2:TGID_X_EN: 1
; COMPUTE_PGM_RSRC2:TGID_Y_EN: 0
; COMPUTE_PGM_RSRC2:TGID_Z_EN: 0
; COMPUTE_PGM_RSRC2:TIDIG_COMP_CNT: 0
	.section	.text._Z11fill_kernelIiZ21hipblaslt_init_deviceIiEv8ABC_dims24hipblaslt_initializationbPT_mmmmmEUlmE9_EvS4_mmT0_,"axG",@progbits,_Z11fill_kernelIiZ21hipblaslt_init_deviceIiEv8ABC_dims24hipblaslt_initializationbPT_mmmmmEUlmE9_EvS4_mmT0_,comdat
	.protected	_Z11fill_kernelIiZ21hipblaslt_init_deviceIiEv8ABC_dims24hipblaslt_initializationbPT_mmmmmEUlmE9_EvS4_mmT0_ ; -- Begin function _Z11fill_kernelIiZ21hipblaslt_init_deviceIiEv8ABC_dims24hipblaslt_initializationbPT_mmmmmEUlmE9_EvS4_mmT0_
	.globl	_Z11fill_kernelIiZ21hipblaslt_init_deviceIiEv8ABC_dims24hipblaslt_initializationbPT_mmmmmEUlmE9_EvS4_mmT0_
	.p2align	8
	.type	_Z11fill_kernelIiZ21hipblaslt_init_deviceIiEv8ABC_dims24hipblaslt_initializationbPT_mmmmmEUlmE9_EvS4_mmT0_,@function
_Z11fill_kernelIiZ21hipblaslt_init_deviceIiEv8ABC_dims24hipblaslt_initializationbPT_mmmmmEUlmE9_EvS4_mmT0_: ; @_Z11fill_kernelIiZ21hipblaslt_init_deviceIiEv8ABC_dims24hipblaslt_initializationbPT_mmmmmEUlmE9_EvS4_mmT0_
; %bb.0:
	s_clause 0x1
	s_load_b32 s2, s[0:1], 0x2c
	s_load_b128 s[4:7], s[0:1], 0x0
	s_waitcnt lgkmcnt(0)
	s_and_b32 s2, s2, 0xffff
	s_delay_alu instid0(SALU_CYCLE_1) | instskip(SKIP_2) | instid1(VALU_DEP_1)
	v_mad_u64_u32 v[1:2], null, s15, s2, v[0:1]
	v_mov_b32_e32 v2, 0
	s_mov_b32 s2, exec_lo
	v_cmpx_gt_u64_e64 s[6:7], v[1:2]
	s_cbranch_execz .LBB98_6
; %bb.1:
	s_clause 0x1
	s_load_b64 s[2:3], s[0:1], 0x10
	s_load_b32 s0, s[0:1], 0x18
	s_waitcnt lgkmcnt(0)
	v_add_co_u32 v0, s1, v1, s2
	s_delay_alu instid0(VALU_DEP_1) | instskip(NEXT) | instid1(VALU_DEP_2)
	v_add_co_ci_u32_e64 v1, null, 0, s3, s1
	v_add_nc_u32_e32 v6, s0, v0
	s_mov_b32 s0, 0xb90ffb1d
	s_delay_alu instid0(VALU_DEP_1) | instid1(SALU_CYCLE_1)
	v_mad_u64_u32 v[2:3], null, v6, s0, 0xdc6d3ef
	v_mad_u64_u32 v[3:4], null, 0x10dcd, v6, 1
	s_mov_b32 s0, 0x6ab9d291
	s_delay_alu instid0(VALU_DEP_2) | instskip(NEXT) | instid1(VALU_DEP_2)
	v_lshrrev_b32_e32 v5, 2, v2
	v_lshlrev_b32_e32 v7, 4, v3
	s_delay_alu instid0(VALU_DEP_2) | instskip(SKIP_2) | instid1(VALU_DEP_2)
	v_xor_b32_e32 v2, v5, v2
	v_mad_u64_u32 v[4:5], null, v6, s0, 0xffffffffdfb3c992
	s_mov_b32 s0, exec_lo
	v_lshlrev_b32_e32 v5, 1, v2
	s_delay_alu instid0(VALU_DEP_2) | instskip(NEXT) | instid1(VALU_DEP_2)
	v_lshrrev_b32_e32 v8, 2, v4
	v_xor_b32_e32 v5, v7, v5
	s_delay_alu instid0(VALU_DEP_2) | instskip(NEXT) | instid1(VALU_DEP_2)
	v_xor_b32_e32 v7, v8, v4
	v_xor3_b32 v3, v5, v3, v2
                                        ; implicit-def: $vgpr5
	s_delay_alu instid0(VALU_DEP_2) | instskip(NEXT) | instid1(VALU_DEP_2)
	v_lshlrev_b32_e32 v2, 1, v7
	v_lshlrev_b32_e32 v4, 4, v3
	s_delay_alu instid0(VALU_DEP_1) | instskip(SKIP_1) | instid1(VALU_DEP_2)
	v_xor_b32_e32 v2, v2, v4
	v_xor_b32_e32 v4, 0x587c5, v6
                                        ; implicit-def: $vgpr6
	v_xor3_b32 v2, v2, v7, v3
	s_delay_alu instid0(VALU_DEP_1) | instskip(NEXT) | instid1(VALU_DEP_1)
	v_add3_u32 v2, v4, v2, 0xb0f8a
	v_cvt_f32_u32_e32 v2, v2
	s_delay_alu instid0(VALU_DEP_1) | instskip(NEXT) | instid1(VALU_DEP_1)
	v_mul_f32_e32 v2, 0x2f800000, v2
	v_mul_f32_e32 v2, 0x40c90fdb, v2
	s_delay_alu instid0(VALU_DEP_1)
	v_cmpx_ngt_f32_e32 0x48000000, v2
	s_xor_b32 s3, exec_lo, s0
	s_cbranch_execz .LBB98_3
; %bb.2:
	s_mov_b32 s0, 0x7fffff
	v_mov_b32_e32 v7, 0
	v_and_or_b32 v15, v2, s0, 0x800000
	v_lshrrev_b32_e32 v12, 23, v2
	s_delay_alu instid0(VALU_DEP_2) | instskip(NEXT) | instid1(VALU_DEP_2)
	v_mad_u64_u32 v[5:6], null, 0xfe5163ab, v15, 0
	v_add_nc_u32_e32 v13, 0xffffff88, v12
	s_delay_alu instid0(VALU_DEP_1) | instskip(NEXT) | instid1(VALU_DEP_3)
	v_cmp_lt_u32_e32 vcc_lo, 63, v13
	v_mad_u64_u32 v[8:9], null, 0x3c439041, v15, v[6:7]
	v_cndmask_b32_e64 v14, 0, 0xffffffc0, vcc_lo
	s_delay_alu instid0(VALU_DEP_2) | instskip(NEXT) | instid1(VALU_DEP_2)
	v_mov_b32_e32 v6, v9
	v_add_nc_u32_e32 v14, v14, v13
	s_delay_alu instid0(VALU_DEP_2) | instskip(NEXT) | instid1(VALU_DEP_2)
	v_mad_u64_u32 v[9:10], null, 0xdb629599, v15, v[6:7]
	v_cmp_lt_u32_e64 s0, 31, v14
	s_delay_alu instid0(VALU_DEP_1) | instskip(NEXT) | instid1(VALU_DEP_3)
	v_cndmask_b32_e64 v16, 0, 0xffffffe0, s0
	v_dual_mov_b32 v6, v10 :: v_dual_cndmask_b32 v5, v9, v5
	s_delay_alu instid0(VALU_DEP_2) | instskip(NEXT) | instid1(VALU_DEP_2)
	v_add_nc_u32_e32 v16, v16, v14
	v_mad_u64_u32 v[10:11], null, 0xf534ddc0, v15, v[6:7]
	s_delay_alu instid0(VALU_DEP_2) | instskip(NEXT) | instid1(VALU_DEP_2)
	v_cmp_lt_u32_e64 s1, 31, v16
	v_mov_b32_e32 v6, v11
	s_delay_alu instid0(VALU_DEP_3) | instskip(NEXT) | instid1(VALU_DEP_2)
	v_cndmask_b32_e32 v8, v10, v8, vcc_lo
	v_mad_u64_u32 v[11:12], null, 0xfc2757d1, v15, v[6:7]
	s_delay_alu instid0(VALU_DEP_2) | instskip(NEXT) | instid1(VALU_DEP_2)
	v_cndmask_b32_e64 v5, v8, v5, s0
	v_mov_b32_e32 v6, v12
	s_delay_alu instid0(VALU_DEP_1) | instskip(NEXT) | instid1(VALU_DEP_1)
	v_mad_u64_u32 v[12:13], null, 0x4e441529, v15, v[6:7]
	v_mov_b32_e32 v6, v13
	s_delay_alu instid0(VALU_DEP_1) | instskip(SKIP_1) | instid1(VALU_DEP_1)
	v_mad_u64_u32 v[13:14], null, 0xa2f9836e, v15, v[6:7]
	v_cndmask_b32_e64 v6, 0, 0xffffffe0, s1
	v_dual_cndmask_b32 v7, v12, v10 :: v_dual_add_nc_u32 v6, v6, v16
	s_delay_alu instid0(VALU_DEP_3) | instskip(NEXT) | instid1(VALU_DEP_4)
	v_cndmask_b32_e32 v13, v13, v11, vcc_lo
	v_dual_cndmask_b32 v11, v11, v9 :: v_dual_cndmask_b32 v12, v14, v12
	s_delay_alu instid0(VALU_DEP_3) | instskip(NEXT) | instid1(VALU_DEP_3)
	v_cmp_eq_u32_e64 s2, 0, v6
	v_cndmask_b32_e64 v10, v13, v7, s0
	s_delay_alu instid0(VALU_DEP_3) | instskip(NEXT) | instid1(VALU_DEP_4)
	v_cndmask_b32_e64 v7, v7, v11, s0
	v_cndmask_b32_e64 v12, v12, v13, s0
	v_sub_nc_u32_e32 v13, 32, v6
	v_cndmask_b32_e64 v11, v11, v8, s0
	s_delay_alu instid0(VALU_DEP_3) | instskip(SKIP_1) | instid1(VALU_DEP_3)
	v_cndmask_b32_e64 v12, v12, v10, s1
	v_cndmask_b32_e64 v10, v10, v7, s1
	;; [unrolled: 1-line block ×4, first 2 shown]
	s_delay_alu instid0(VALU_DEP_3) | instskip(NEXT) | instid1(VALU_DEP_3)
	v_alignbit_b32 v14, v12, v10, v13
	v_alignbit_b32 v15, v10, v7, v13
	s_delay_alu instid0(VALU_DEP_3) | instskip(NEXT) | instid1(VALU_DEP_3)
	v_alignbit_b32 v13, v7, v5, v13
	v_cndmask_b32_e64 v6, v14, v12, s2
	s_delay_alu instid0(VALU_DEP_3) | instskip(NEXT) | instid1(VALU_DEP_3)
	v_cndmask_b32_e64 v9, v15, v10, s2
	v_cndmask_b32_e64 v7, v13, v7, s2
	s_delay_alu instid0(VALU_DEP_3) | instskip(NEXT) | instid1(VALU_DEP_3)
	v_bfe_u32 v10, v6, 29, 1
	v_alignbit_b32 v8, v6, v9, 30
	s_delay_alu instid0(VALU_DEP_3) | instskip(SKIP_1) | instid1(VALU_DEP_4)
	v_alignbit_b32 v9, v9, v7, 30
	v_alignbit_b32 v5, v7, v5, 30
	v_sub_nc_u32_e32 v12, 0, v10
	s_delay_alu instid0(VALU_DEP_1) | instskip(SKIP_3) | instid1(VALU_DEP_4)
	v_xor_b32_e32 v11, v8, v12
	v_cmp_ne_u32_e32 vcc_lo, v8, v12
	v_xor_b32_e32 v7, v9, v12
	v_xor_b32_e32 v5, v5, v12
	v_clz_i32_u32_e32 v14, v11
	s_delay_alu instid0(VALU_DEP_1) | instskip(NEXT) | instid1(VALU_DEP_1)
	v_add_nc_u32_e32 v13, 1, v14
	v_cndmask_b32_e32 v8, 33, v13, vcc_lo
	s_delay_alu instid0(VALU_DEP_1) | instskip(NEXT) | instid1(VALU_DEP_1)
	v_sub_nc_u32_e32 v9, 32, v8
	v_alignbit_b32 v11, v11, v7, v9
	v_alignbit_b32 v5, v7, v5, v9
	v_lshrrev_b32_e32 v7, 29, v6
	v_lshrrev_b32_e32 v6, 30, v6
	s_delay_alu instid0(VALU_DEP_3) | instskip(NEXT) | instid1(VALU_DEP_3)
	v_alignbit_b32 v9, v11, v5, 9
	v_lshlrev_b32_e32 v7, 31, v7
	v_alignbit_b32 v11, v8, v11, 9
	s_delay_alu instid0(VALU_DEP_4) | instskip(NEXT) | instid1(VALU_DEP_4)
	v_add_nc_u32_e32 v6, v10, v6
	v_clz_i32_u32_e32 v12, v9
	s_delay_alu instid0(VALU_DEP_3) | instskip(SKIP_1) | instid1(VALU_DEP_3)
	v_or_b32_e32 v11, v11, v7
	v_or_b32_e32 v7, 0x33800000, v7
	v_min_u32_e32 v12, 32, v12
	s_delay_alu instid0(VALU_DEP_3) | instskip(NEXT) | instid1(VALU_DEP_2)
	v_xor_b32_e32 v11, 1.0, v11
	v_sub_nc_u32_e32 v13, 31, v12
	v_add_lshl_u32 v8, v12, v8, 23
	s_delay_alu instid0(VALU_DEP_3) | instskip(NEXT) | instid1(VALU_DEP_3)
	v_mul_f32_e32 v12, 0x3fc90fda, v11
	v_alignbit_b32 v5, v9, v5, v13
	s_delay_alu instid0(VALU_DEP_3) | instskip(NEXT) | instid1(VALU_DEP_3)
	v_sub_nc_u32_e32 v7, v7, v8
	v_fma_f32 v8, 0x3fc90fda, v11, -v12
	s_delay_alu instid0(VALU_DEP_3) | instskip(NEXT) | instid1(VALU_DEP_2)
	v_lshrrev_b32_e32 v5, 9, v5
	v_fmamk_f32 v8, v11, 0x33a22168, v8
	s_delay_alu instid0(VALU_DEP_2) | instskip(NEXT) | instid1(VALU_DEP_1)
	v_or_b32_e32 v5, v7, v5
	v_fmac_f32_e32 v8, 0x3fc90fda, v5
	s_delay_alu instid0(VALU_DEP_1)
	v_add_f32_e32 v5, v12, v8
.LBB98_3:
	s_and_not1_saveexec_b32 s0, s3
; %bb.4:
	v_mul_f32_e32 v5, 0x3f22f983, v2
	s_delay_alu instid0(VALU_DEP_1) | instskip(NEXT) | instid1(VALU_DEP_1)
	v_rndne_f32_e32 v6, v5
	v_fmamk_f32 v5, v6, 0xbfc90fda, v2
	s_delay_alu instid0(VALU_DEP_1) | instskip(NEXT) | instid1(VALU_DEP_1)
	v_fmamk_f32 v5, v6, 0xb3a22168, v5
	v_fmamk_f32 v5, v6, 0xa7c234c4, v5
	v_cvt_i32_f32_e32 v6, v6
; %bb.5:
	s_or_b32 exec_lo, exec_lo, s0
	v_add3_u32 v3, v4, v3, 0x587c5
	s_delay_alu instid0(VALU_DEP_2) | instskip(SKIP_4) | instid1(VALU_DEP_1)
	v_and_b32_e32 v13, 1, v6
	s_mov_b32 s0, 0xb94c1982
	s_mov_b32 s1, 0x37d75334
	v_lshlrev_b64 v[0:1], 2, v[0:1]
	v_cvt_f32_u32_e32 v3, v3
	v_dual_mul_f32 v3, 0x2f800000, v3 :: v_dual_lshlrev_b32 v6, 30, v6
	s_delay_alu instid0(VALU_DEP_1) | instskip(NEXT) | instid1(VALU_DEP_2)
	v_and_b32_e32 v6, 0x80000000, v6
	v_cmp_ngt_f32_e32 vcc_lo, 0x2edbe6ff, v3
	v_cndmask_b32_e32 v3, 0x2edbe6ff, v3, vcc_lo
	s_delay_alu instid0(VALU_DEP_1) | instskip(SKIP_1) | instid1(VALU_DEP_1)
	v_cmp_gt_f32_e32 vcc_lo, 0x800000, v3
	v_cndmask_b32_e64 v4, 1.0, 0x4f800000, vcc_lo
	v_mul_f32_e32 v3, v3, v4
	s_delay_alu instid0(VALU_DEP_1) | instskip(SKIP_2) | instid1(VALU_DEP_1)
	v_log_f32_e32 v3, v3
	s_waitcnt_depctr 0xfff
	v_mul_f32_e32 v4, 0x3f317217, v3
	v_fma_f32 v7, 0x3f317217, v3, -v4
	s_delay_alu instid0(VALU_DEP_1) | instskip(NEXT) | instid1(VALU_DEP_1)
	v_fmamk_f32 v7, v3, 0x3377d1cf, v7
	v_add_f32_e32 v4, v4, v7
	v_cndmask_b32_e64 v7, 0, 0x41b17218, vcc_lo
	v_cmp_gt_f32_e64 vcc_lo, 0x7f800000, |v3|
	s_delay_alu instid0(VALU_DEP_3) | instskip(NEXT) | instid1(VALU_DEP_1)
	v_cndmask_b32_e32 v3, v3, v4, vcc_lo
	v_sub_f32_e32 v3, v3, v7
	v_mul_f32_e32 v7, v5, v5
	s_delay_alu instid0(VALU_DEP_1) | instskip(NEXT) | instid1(VALU_DEP_3)
	v_fmaak_f32 v8, s0, v7, 0x3c0881c4
	v_mul_f32_e32 v3, -2.0, v3
	v_fmaak_f32 v9, s1, v7, 0xbab64f3b
	s_delay_alu instid0(VALU_DEP_3) | instskip(NEXT) | instid1(VALU_DEP_3)
	v_fmaak_f32 v8, v7, v8, 0xbe2aaa9d
	v_cmp_gt_f32_e32 vcc_lo, 0xf800000, v3
	s_delay_alu instid0(VALU_DEP_3) | instskip(NEXT) | instid1(VALU_DEP_3)
	v_fmaak_f32 v9, v7, v9, 0x3d2aabf7
	v_mul_f32_e32 v8, v7, v8
	v_mul_f32_e32 v4, 0x4f800000, v3
	s_delay_alu instid0(VALU_DEP_3) | instskip(NEXT) | instid1(VALU_DEP_3)
	v_fmaak_f32 v9, v7, v9, 0xbf000004
	v_fmac_f32_e32 v5, v5, v8
	s_delay_alu instid0(VALU_DEP_3) | instskip(NEXT) | instid1(VALU_DEP_3)
	v_cndmask_b32_e32 v3, v3, v4, vcc_lo
	v_fma_f32 v7, v7, v9, 1.0
	s_delay_alu instid0(VALU_DEP_2) | instskip(SKIP_3) | instid1(VALU_DEP_2)
	v_sqrt_f32_e32 v4, v3
	s_waitcnt_depctr 0xfff
	v_add_nc_u32_e32 v10, -1, v4
	v_add_nc_u32_e32 v11, 1, v4
	v_fma_f32 v12, -v10, v4, v3
	s_delay_alu instid0(VALU_DEP_2) | instskip(NEXT) | instid1(VALU_DEP_2)
	v_fma_f32 v14, -v11, v4, v3
	v_cmp_ge_f32_e64 s0, 0, v12
	s_delay_alu instid0(VALU_DEP_1) | instskip(NEXT) | instid1(VALU_DEP_3)
	v_cndmask_b32_e64 v4, v4, v10, s0
	v_cmp_lt_f32_e64 s0, 0, v14
	s_delay_alu instid0(VALU_DEP_1) | instskip(SKIP_1) | instid1(VALU_DEP_1)
	v_cndmask_b32_e64 v4, v4, v11, s0
	v_cmp_eq_u32_e64 s0, 0, v13
	v_cndmask_b32_e64 v5, -v5, v7, s0
	s_delay_alu instid0(VALU_DEP_3) | instskip(NEXT) | instid1(VALU_DEP_2)
	v_mul_f32_e32 v7, 0x37800000, v4
	v_xor_b32_e32 v5, v6, v5
	s_delay_alu instid0(VALU_DEP_2) | instskip(SKIP_1) | instid1(VALU_DEP_3)
	v_cndmask_b32_e32 v4, v4, v7, vcc_lo
	v_cmp_lg_f32_e32 vcc_lo, 0x7f800000, v2
	v_cndmask_b32_e32 v2, 0x7fc00000, v5, vcc_lo
	v_cmp_class_f32_e64 vcc_lo, v3, 0x260
	s_delay_alu instid0(VALU_DEP_4) | instskip(SKIP_2) | instid1(VALU_DEP_3)
	v_cndmask_b32_e32 v3, v4, v3, vcc_lo
	v_add_co_u32 v0, vcc_lo, s4, v0
	v_add_co_ci_u32_e32 v1, vcc_lo, s5, v1, vcc_lo
	v_mul_f32_e32 v2, v3, v2
	s_delay_alu instid0(VALU_DEP_1)
	v_cvt_i32_f32_e32 v2, v2
	global_store_b32 v[0:1], v2, off
.LBB98_6:
	s_nop 0
	s_sendmsg sendmsg(MSG_DEALLOC_VGPRS)
	s_endpgm
	.section	.rodata,"a",@progbits
	.p2align	6, 0x0
	.amdhsa_kernel _Z11fill_kernelIiZ21hipblaslt_init_deviceIiEv8ABC_dims24hipblaslt_initializationbPT_mmmmmEUlmE9_EvS4_mmT0_
		.amdhsa_group_segment_fixed_size 0
		.amdhsa_private_segment_fixed_size 0
		.amdhsa_kernarg_size 288
		.amdhsa_user_sgpr_count 15
		.amdhsa_user_sgpr_dispatch_ptr 0
		.amdhsa_user_sgpr_queue_ptr 0
		.amdhsa_user_sgpr_kernarg_segment_ptr 1
		.amdhsa_user_sgpr_dispatch_id 0
		.amdhsa_user_sgpr_private_segment_size 0
		.amdhsa_wavefront_size32 1
		.amdhsa_uses_dynamic_stack 0
		.amdhsa_enable_private_segment 0
		.amdhsa_system_sgpr_workgroup_id_x 1
		.amdhsa_system_sgpr_workgroup_id_y 0
		.amdhsa_system_sgpr_workgroup_id_z 0
		.amdhsa_system_sgpr_workgroup_info 0
		.amdhsa_system_vgpr_workitem_id 0
		.amdhsa_next_free_vgpr 17
		.amdhsa_next_free_sgpr 16
		.amdhsa_reserve_vcc 1
		.amdhsa_float_round_mode_32 0
		.amdhsa_float_round_mode_16_64 0
		.amdhsa_float_denorm_mode_32 3
		.amdhsa_float_denorm_mode_16_64 3
		.amdhsa_dx10_clamp 1
		.amdhsa_ieee_mode 1
		.amdhsa_fp16_overflow 0
		.amdhsa_workgroup_processor_mode 1
		.amdhsa_memory_ordered 1
		.amdhsa_forward_progress 0
		.amdhsa_shared_vgpr_count 0
		.amdhsa_exception_fp_ieee_invalid_op 0
		.amdhsa_exception_fp_denorm_src 0
		.amdhsa_exception_fp_ieee_div_zero 0
		.amdhsa_exception_fp_ieee_overflow 0
		.amdhsa_exception_fp_ieee_underflow 0
		.amdhsa_exception_fp_ieee_inexact 0
		.amdhsa_exception_int_div_zero 0
	.end_amdhsa_kernel
	.section	.text._Z11fill_kernelIiZ21hipblaslt_init_deviceIiEv8ABC_dims24hipblaslt_initializationbPT_mmmmmEUlmE9_EvS4_mmT0_,"axG",@progbits,_Z11fill_kernelIiZ21hipblaslt_init_deviceIiEv8ABC_dims24hipblaslt_initializationbPT_mmmmmEUlmE9_EvS4_mmT0_,comdat
.Lfunc_end98:
	.size	_Z11fill_kernelIiZ21hipblaslt_init_deviceIiEv8ABC_dims24hipblaslt_initializationbPT_mmmmmEUlmE9_EvS4_mmT0_, .Lfunc_end98-_Z11fill_kernelIiZ21hipblaslt_init_deviceIiEv8ABC_dims24hipblaslt_initializationbPT_mmmmmEUlmE9_EvS4_mmT0_
                                        ; -- End function
	.section	.AMDGPU.csdata,"",@progbits
; Kernel info:
; codeLenInByte = 1584
; NumSgprs: 18
; NumVgprs: 17
; ScratchSize: 0
; MemoryBound: 0
; FloatMode: 240
; IeeeMode: 1
; LDSByteSize: 0 bytes/workgroup (compile time only)
; SGPRBlocks: 2
; VGPRBlocks: 2
; NumSGPRsForWavesPerEU: 18
; NumVGPRsForWavesPerEU: 17
; Occupancy: 16
; WaveLimiterHint : 0
; COMPUTE_PGM_RSRC2:SCRATCH_EN: 0
; COMPUTE_PGM_RSRC2:USER_SGPR: 15
; COMPUTE_PGM_RSRC2:TRAP_HANDLER: 0
; COMPUTE_PGM_RSRC2:TGID_X_EN: 1
; COMPUTE_PGM_RSRC2:TGID_Y_EN: 0
; COMPUTE_PGM_RSRC2:TGID_Z_EN: 0
; COMPUTE_PGM_RSRC2:TIDIG_COMP_CNT: 0
	.section	.text._Z11fill_kernelIaZ21hipblaslt_init_deviceIaEv8ABC_dims24hipblaslt_initializationbPT_mmmmmEUlmE_EvS4_mmT0_,"axG",@progbits,_Z11fill_kernelIaZ21hipblaslt_init_deviceIaEv8ABC_dims24hipblaslt_initializationbPT_mmmmmEUlmE_EvS4_mmT0_,comdat
	.protected	_Z11fill_kernelIaZ21hipblaslt_init_deviceIaEv8ABC_dims24hipblaslt_initializationbPT_mmmmmEUlmE_EvS4_mmT0_ ; -- Begin function _Z11fill_kernelIaZ21hipblaslt_init_deviceIaEv8ABC_dims24hipblaslt_initializationbPT_mmmmmEUlmE_EvS4_mmT0_
	.globl	_Z11fill_kernelIaZ21hipblaslt_init_deviceIaEv8ABC_dims24hipblaslt_initializationbPT_mmmmmEUlmE_EvS4_mmT0_
	.p2align	8
	.type	_Z11fill_kernelIaZ21hipblaslt_init_deviceIaEv8ABC_dims24hipblaslt_initializationbPT_mmmmmEUlmE_EvS4_mmT0_,@function
_Z11fill_kernelIaZ21hipblaslt_init_deviceIaEv8ABC_dims24hipblaslt_initializationbPT_mmmmmEUlmE_EvS4_mmT0_: ; @_Z11fill_kernelIaZ21hipblaslt_init_deviceIaEv8ABC_dims24hipblaslt_initializationbPT_mmmmmEUlmE_EvS4_mmT0_
; %bb.0:
	s_clause 0x1
	s_load_b32 s2, s[0:1], 0x8c
	s_load_b128 s[4:7], s[0:1], 0x0
	s_waitcnt lgkmcnt(0)
	s_and_b32 s2, s2, 0xffff
	s_delay_alu instid0(SALU_CYCLE_1) | instskip(SKIP_2) | instid1(VALU_DEP_1)
	v_mad_u64_u32 v[1:2], null, s15, s2, v[0:1]
	v_mov_b32_e32 v2, 0
	s_mov_b32 s2, exec_lo
	v_cmpx_gt_u64_e64 s[6:7], v[1:2]
	s_cbranch_execz .LBB99_2
; %bb.1:
	s_load_b64 s[2:3], s[0:1], 0x10
	s_mov_b32 s6, 0x19660d
	s_waitcnt lgkmcnt(0)
	v_add_co_u32 v4, s2, v1, s2
	s_delay_alu instid0(VALU_DEP_1) | instskip(NEXT) | instid1(VALU_DEP_2)
	v_add_co_ci_u32_e64 v5, null, 0, s3, s2
	v_mad_u64_u32 v[0:1], null, v4, s6, 0x3c6ef35f
	s_delay_alu instid0(VALU_DEP_1) | instskip(NEXT) | instid1(VALU_DEP_1)
	v_mad_u64_u32 v[2:3], null, 0x19660d, v5, v[1:2]
	v_mov_b32_e32 v1, v2
	s_delay_alu instid0(VALU_DEP_1) | instskip(NEXT) | instid1(VALU_DEP_1)
	v_lshlrev_b64 v[2:3], 13, v[0:1]
	v_xor_b32_e32 v1, v3, v1
	s_delay_alu instid0(VALU_DEP_2) | instskip(NEXT) | instid1(VALU_DEP_1)
	v_xor_b32_e32 v0, v2, v0
	v_lshrrev_b64 v[2:3], 17, v[0:1]
	s_delay_alu instid0(VALU_DEP_1) | instskip(NEXT) | instid1(VALU_DEP_2)
	v_xor_b32_e32 v1, v3, v1
	v_xor_b32_e32 v0, v2, v0
	s_delay_alu instid0(VALU_DEP_1) | instskip(NEXT) | instid1(VALU_DEP_1)
	v_lshlrev_b64 v[2:3], 5, v[0:1]
	v_xor_b32_e32 v1, v3, v1
	s_delay_alu instid0(VALU_DEP_2) | instskip(NEXT) | instid1(VALU_DEP_1)
	v_xor_b32_e32 v0, v2, v0
	v_lshlrev_b64 v[2:3], 13, v[0:1]
	s_delay_alu instid0(VALU_DEP_1) | instskip(NEXT) | instid1(VALU_DEP_2)
	v_xor_b32_e32 v1, v3, v1
	v_xor_b32_e32 v0, v2, v0
	s_delay_alu instid0(VALU_DEP_1) | instskip(NEXT) | instid1(VALU_DEP_1)
	v_lshrrev_b64 v[2:3], 17, v[0:1]
	v_xor_b32_e32 v1, v3, v1
	s_delay_alu instid0(VALU_DEP_2) | instskip(NEXT) | instid1(VALU_DEP_1)
	v_xor_b32_e32 v0, v2, v0
	v_lshlrev_b64 v[2:3], 5, v[0:1]
	s_delay_alu instid0(VALU_DEP_1) | instskip(NEXT) | instid1(VALU_DEP_2)
	v_xor_b32_e32 v1, v3, v1
	v_xor_b32_e32 v0, v2, v0
	s_delay_alu instid0(VALU_DEP_1) | instskip(NEXT) | instid1(VALU_DEP_1)
	v_lshlrev_b64 v[2:3], 13, v[0:1]
	v_xor_b32_e32 v1, v3, v1
	s_delay_alu instid0(VALU_DEP_2) | instskip(NEXT) | instid1(VALU_DEP_1)
	v_xor_b32_e32 v0, v2, v0
	v_alignbit_b32 v1, v1, v0, 17
	s_delay_alu instid0(VALU_DEP_1) | instskip(NEXT) | instid1(VALU_DEP_1)
	v_xor_b32_e32 v0, v1, v0
	v_lshlrev_b32_e32 v1, 5, v0
	s_delay_alu instid0(VALU_DEP_1) | instskip(NEXT) | instid1(VALU_DEP_1)
	v_xor_b32_e32 v0, v1, v0
	v_mul_hi_u32 v1, 0x51eb851f, v0
	s_delay_alu instid0(VALU_DEP_1) | instskip(NEXT) | instid1(VALU_DEP_1)
	v_lshrrev_b32_e32 v1, 5, v1
	v_mul_lo_u32 v1, 0x64, v1
	s_delay_alu instid0(VALU_DEP_1)
	v_sub_nc_u32_e32 v0, v0, v1
	global_load_u8 v2, v0, s[0:1] offset:24
	v_add_co_u32 v0, vcc_lo, s4, v4
	v_add_co_ci_u32_e32 v1, vcc_lo, s5, v5, vcc_lo
	s_waitcnt vmcnt(0)
	global_store_b8 v[0:1], v2, off
.LBB99_2:
	s_nop 0
	s_sendmsg sendmsg(MSG_DEALLOC_VGPRS)
	s_endpgm
	.section	.rodata,"a",@progbits
	.p2align	6, 0x0
	.amdhsa_kernel _Z11fill_kernelIaZ21hipblaslt_init_deviceIaEv8ABC_dims24hipblaslt_initializationbPT_mmmmmEUlmE_EvS4_mmT0_
		.amdhsa_group_segment_fixed_size 0
		.amdhsa_private_segment_fixed_size 0
		.amdhsa_kernarg_size 384
		.amdhsa_user_sgpr_count 15
		.amdhsa_user_sgpr_dispatch_ptr 0
		.amdhsa_user_sgpr_queue_ptr 0
		.amdhsa_user_sgpr_kernarg_segment_ptr 1
		.amdhsa_user_sgpr_dispatch_id 0
		.amdhsa_user_sgpr_private_segment_size 0
		.amdhsa_wavefront_size32 1
		.amdhsa_uses_dynamic_stack 0
		.amdhsa_enable_private_segment 0
		.amdhsa_system_sgpr_workgroup_id_x 1
		.amdhsa_system_sgpr_workgroup_id_y 0
		.amdhsa_system_sgpr_workgroup_id_z 0
		.amdhsa_system_sgpr_workgroup_info 0
		.amdhsa_system_vgpr_workitem_id 0
		.amdhsa_next_free_vgpr 6
		.amdhsa_next_free_sgpr 16
		.amdhsa_reserve_vcc 1
		.amdhsa_float_round_mode_32 0
		.amdhsa_float_round_mode_16_64 0
		.amdhsa_float_denorm_mode_32 3
		.amdhsa_float_denorm_mode_16_64 3
		.amdhsa_dx10_clamp 1
		.amdhsa_ieee_mode 1
		.amdhsa_fp16_overflow 0
		.amdhsa_workgroup_processor_mode 1
		.amdhsa_memory_ordered 1
		.amdhsa_forward_progress 0
		.amdhsa_shared_vgpr_count 0
		.amdhsa_exception_fp_ieee_invalid_op 0
		.amdhsa_exception_fp_denorm_src 0
		.amdhsa_exception_fp_ieee_div_zero 0
		.amdhsa_exception_fp_ieee_overflow 0
		.amdhsa_exception_fp_ieee_underflow 0
		.amdhsa_exception_fp_ieee_inexact 0
		.amdhsa_exception_int_div_zero 0
	.end_amdhsa_kernel
	.section	.text._Z11fill_kernelIaZ21hipblaslt_init_deviceIaEv8ABC_dims24hipblaslt_initializationbPT_mmmmmEUlmE_EvS4_mmT0_,"axG",@progbits,_Z11fill_kernelIaZ21hipblaslt_init_deviceIaEv8ABC_dims24hipblaslt_initializationbPT_mmmmmEUlmE_EvS4_mmT0_,comdat
.Lfunc_end99:
	.size	_Z11fill_kernelIaZ21hipblaslt_init_deviceIaEv8ABC_dims24hipblaslt_initializationbPT_mmmmmEUlmE_EvS4_mmT0_, .Lfunc_end99-_Z11fill_kernelIaZ21hipblaslt_init_deviceIaEv8ABC_dims24hipblaslt_initializationbPT_mmmmmEUlmE_EvS4_mmT0_
                                        ; -- End function
	.section	.AMDGPU.csdata,"",@progbits
; Kernel info:
; codeLenInByte = 404
; NumSgprs: 18
; NumVgprs: 6
; ScratchSize: 0
; MemoryBound: 0
; FloatMode: 240
; IeeeMode: 1
; LDSByteSize: 0 bytes/workgroup (compile time only)
; SGPRBlocks: 2
; VGPRBlocks: 0
; NumSGPRsForWavesPerEU: 18
; NumVGPRsForWavesPerEU: 6
; Occupancy: 16
; WaveLimiterHint : 0
; COMPUTE_PGM_RSRC2:SCRATCH_EN: 0
; COMPUTE_PGM_RSRC2:USER_SGPR: 15
; COMPUTE_PGM_RSRC2:TRAP_HANDLER: 0
; COMPUTE_PGM_RSRC2:TGID_X_EN: 1
; COMPUTE_PGM_RSRC2:TGID_Y_EN: 0
; COMPUTE_PGM_RSRC2:TGID_Z_EN: 0
; COMPUTE_PGM_RSRC2:TIDIG_COMP_CNT: 0
	.section	.text._Z11fill_kernelIaZ21hipblaslt_init_deviceIaEv8ABC_dims24hipblaslt_initializationbPT_mmmmmEUlmE0_EvS4_mmT0_,"axG",@progbits,_Z11fill_kernelIaZ21hipblaslt_init_deviceIaEv8ABC_dims24hipblaslt_initializationbPT_mmmmmEUlmE0_EvS4_mmT0_,comdat
	.protected	_Z11fill_kernelIaZ21hipblaslt_init_deviceIaEv8ABC_dims24hipblaslt_initializationbPT_mmmmmEUlmE0_EvS4_mmT0_ ; -- Begin function _Z11fill_kernelIaZ21hipblaslt_init_deviceIaEv8ABC_dims24hipblaslt_initializationbPT_mmmmmEUlmE0_EvS4_mmT0_
	.globl	_Z11fill_kernelIaZ21hipblaslt_init_deviceIaEv8ABC_dims24hipblaslt_initializationbPT_mmmmmEUlmE0_EvS4_mmT0_
	.p2align	8
	.type	_Z11fill_kernelIaZ21hipblaslt_init_deviceIaEv8ABC_dims24hipblaslt_initializationbPT_mmmmmEUlmE0_EvS4_mmT0_,@function
_Z11fill_kernelIaZ21hipblaslt_init_deviceIaEv8ABC_dims24hipblaslt_initializationbPT_mmmmmEUlmE0_EvS4_mmT0_: ; @_Z11fill_kernelIaZ21hipblaslt_init_deviceIaEv8ABC_dims24hipblaslt_initializationbPT_mmmmmEUlmE0_EvS4_mmT0_
; %bb.0:
	s_clause 0x1
	s_load_b32 s2, s[0:1], 0x2c
	s_load_b128 s[4:7], s[0:1], 0x0
	s_waitcnt lgkmcnt(0)
	s_and_b32 s2, s2, 0xffff
	s_delay_alu instid0(SALU_CYCLE_1) | instskip(SKIP_2) | instid1(VALU_DEP_1)
	v_mad_u64_u32 v[1:2], null, s15, s2, v[0:1]
	v_mov_b32_e32 v2, 0
	s_mov_b32 s2, exec_lo
	v_cmpx_gt_u64_e64 s[6:7], v[1:2]
	s_cbranch_execz .LBB100_2
; %bb.1:
	s_load_b64 s[0:1], s[0:1], 0x10
	s_mov_b32 s2, 0x19660d
	s_waitcnt lgkmcnt(0)
	v_add_co_u32 v4, s0, v1, s0
	s_delay_alu instid0(VALU_DEP_1) | instskip(NEXT) | instid1(VALU_DEP_2)
	v_add_co_ci_u32_e64 v5, null, 0, s1, s0
	v_mad_u64_u32 v[0:1], null, v4, s2, 0x3c6ef35f
	s_delay_alu instid0(VALU_DEP_1) | instskip(NEXT) | instid1(VALU_DEP_1)
	v_mad_u64_u32 v[2:3], null, 0x19660d, v5, v[1:2]
	v_mov_b32_e32 v1, v2
	s_delay_alu instid0(VALU_DEP_1) | instskip(NEXT) | instid1(VALU_DEP_1)
	v_lshlrev_b64 v[2:3], 13, v[0:1]
	v_xor_b32_e32 v1, v3, v1
	s_delay_alu instid0(VALU_DEP_2) | instskip(NEXT) | instid1(VALU_DEP_1)
	v_xor_b32_e32 v0, v2, v0
	v_lshrrev_b64 v[2:3], 17, v[0:1]
	s_delay_alu instid0(VALU_DEP_1) | instskip(NEXT) | instid1(VALU_DEP_2)
	v_xor_b32_e32 v1, v3, v1
	v_xor_b32_e32 v0, v2, v0
	s_delay_alu instid0(VALU_DEP_1) | instskip(NEXT) | instid1(VALU_DEP_1)
	v_lshlrev_b64 v[2:3], 5, v[0:1]
	v_xor_b32_e32 v1, v3, v1
	s_delay_alu instid0(VALU_DEP_2) | instskip(NEXT) | instid1(VALU_DEP_1)
	v_xor_b32_e32 v0, v2, v0
	v_lshlrev_b64 v[2:3], 13, v[0:1]
	s_delay_alu instid0(VALU_DEP_1) | instskip(NEXT) | instid1(VALU_DEP_2)
	v_xor_b32_e32 v1, v3, v1
	v_xor_b32_e32 v0, v2, v0
	s_delay_alu instid0(VALU_DEP_1) | instskip(NEXT) | instid1(VALU_DEP_1)
	v_lshrrev_b64 v[2:3], 17, v[0:1]
	v_xor_b32_e32 v1, v3, v1
	s_delay_alu instid0(VALU_DEP_2) | instskip(NEXT) | instid1(VALU_DEP_1)
	v_xor_b32_e32 v0, v2, v0
	v_lshlrev_b64 v[2:3], 5, v[0:1]
	s_delay_alu instid0(VALU_DEP_1) | instskip(NEXT) | instid1(VALU_DEP_2)
	v_xor_b32_e32 v1, v3, v1
	v_xor_b32_e32 v0, v2, v0
	s_delay_alu instid0(VALU_DEP_1) | instskip(NEXT) | instid1(VALU_DEP_1)
	v_lshlrev_b64 v[2:3], 13, v[0:1]
	v_xor_b32_e32 v1, v3, v1
	s_delay_alu instid0(VALU_DEP_2) | instskip(NEXT) | instid1(VALU_DEP_1)
	v_xor_b32_e32 v0, v2, v0
	v_alignbit_b32 v1, v1, v0, 17
	s_delay_alu instid0(VALU_DEP_1) | instskip(NEXT) | instid1(VALU_DEP_1)
	v_xor_b32_e32 v0, v1, v0
	v_lshlrev_b32_e32 v1, 5, v0
	s_delay_alu instid0(VALU_DEP_1) | instskip(NEXT) | instid1(VALU_DEP_1)
	v_xor_b32_e32 v0, v1, v0
	v_mul_hi_u32 v1, 0xaaaaaaab, v0
	s_delay_alu instid0(VALU_DEP_1) | instskip(NEXT) | instid1(VALU_DEP_1)
	v_lshrrev_b32_e32 v1, 1, v1
	v_lshl_add_u32 v1, v1, 1, v1
	s_delay_alu instid0(VALU_DEP_1) | instskip(NEXT) | instid1(VALU_DEP_1)
	v_sub_nc_u32_e32 v0, v0, v1
	v_add_nc_u16 v2, v0, 1
	v_add_co_u32 v0, vcc_lo, s4, v4
	v_add_co_ci_u32_e32 v1, vcc_lo, s5, v5, vcc_lo
	global_store_b8 v[0:1], v2, off
.LBB100_2:
	s_nop 0
	s_sendmsg sendmsg(MSG_DEALLOC_VGPRS)
	s_endpgm
	.section	.rodata,"a",@progbits
	.p2align	6, 0x0
	.amdhsa_kernel _Z11fill_kernelIaZ21hipblaslt_init_deviceIaEv8ABC_dims24hipblaslt_initializationbPT_mmmmmEUlmE0_EvS4_mmT0_
		.amdhsa_group_segment_fixed_size 0
		.amdhsa_private_segment_fixed_size 0
		.amdhsa_kernarg_size 288
		.amdhsa_user_sgpr_count 15
		.amdhsa_user_sgpr_dispatch_ptr 0
		.amdhsa_user_sgpr_queue_ptr 0
		.amdhsa_user_sgpr_kernarg_segment_ptr 1
		.amdhsa_user_sgpr_dispatch_id 0
		.amdhsa_user_sgpr_private_segment_size 0
		.amdhsa_wavefront_size32 1
		.amdhsa_uses_dynamic_stack 0
		.amdhsa_enable_private_segment 0
		.amdhsa_system_sgpr_workgroup_id_x 1
		.amdhsa_system_sgpr_workgroup_id_y 0
		.amdhsa_system_sgpr_workgroup_id_z 0
		.amdhsa_system_sgpr_workgroup_info 0
		.amdhsa_system_vgpr_workitem_id 0
		.amdhsa_next_free_vgpr 6
		.amdhsa_next_free_sgpr 16
		.amdhsa_reserve_vcc 1
		.amdhsa_float_round_mode_32 0
		.amdhsa_float_round_mode_16_64 0
		.amdhsa_float_denorm_mode_32 3
		.amdhsa_float_denorm_mode_16_64 3
		.amdhsa_dx10_clamp 1
		.amdhsa_ieee_mode 1
		.amdhsa_fp16_overflow 0
		.amdhsa_workgroup_processor_mode 1
		.amdhsa_memory_ordered 1
		.amdhsa_forward_progress 0
		.amdhsa_shared_vgpr_count 0
		.amdhsa_exception_fp_ieee_invalid_op 0
		.amdhsa_exception_fp_denorm_src 0
		.amdhsa_exception_fp_ieee_div_zero 0
		.amdhsa_exception_fp_ieee_overflow 0
		.amdhsa_exception_fp_ieee_underflow 0
		.amdhsa_exception_fp_ieee_inexact 0
		.amdhsa_exception_int_div_zero 0
	.end_amdhsa_kernel
	.section	.text._Z11fill_kernelIaZ21hipblaslt_init_deviceIaEv8ABC_dims24hipblaslt_initializationbPT_mmmmmEUlmE0_EvS4_mmT0_,"axG",@progbits,_Z11fill_kernelIaZ21hipblaslt_init_deviceIaEv8ABC_dims24hipblaslt_initializationbPT_mmmmmEUlmE0_EvS4_mmT0_,comdat
.Lfunc_end100:
	.size	_Z11fill_kernelIaZ21hipblaslt_init_deviceIaEv8ABC_dims24hipblaslt_initializationbPT_mmmmmEUlmE0_EvS4_mmT0_, .Lfunc_end100-_Z11fill_kernelIaZ21hipblaslt_init_deviceIaEv8ABC_dims24hipblaslt_initializationbPT_mmmmmEUlmE0_EvS4_mmT0_
                                        ; -- End function
	.section	.AMDGPU.csdata,"",@progbits
; Kernel info:
; codeLenInByte = 396
; NumSgprs: 18
; NumVgprs: 6
; ScratchSize: 0
; MemoryBound: 0
; FloatMode: 240
; IeeeMode: 1
; LDSByteSize: 0 bytes/workgroup (compile time only)
; SGPRBlocks: 2
; VGPRBlocks: 0
; NumSGPRsForWavesPerEU: 18
; NumVGPRsForWavesPerEU: 6
; Occupancy: 16
; WaveLimiterHint : 0
; COMPUTE_PGM_RSRC2:SCRATCH_EN: 0
; COMPUTE_PGM_RSRC2:USER_SGPR: 15
; COMPUTE_PGM_RSRC2:TRAP_HANDLER: 0
; COMPUTE_PGM_RSRC2:TGID_X_EN: 1
; COMPUTE_PGM_RSRC2:TGID_Y_EN: 0
; COMPUTE_PGM_RSRC2:TGID_Z_EN: 0
; COMPUTE_PGM_RSRC2:TIDIG_COMP_CNT: 0
	.section	.text._Z11fill_kernelIaZ21hipblaslt_init_deviceIaEv8ABC_dims24hipblaslt_initializationbPT_mmmmmEUlmE1_EvS4_mmT0_,"axG",@progbits,_Z11fill_kernelIaZ21hipblaslt_init_deviceIaEv8ABC_dims24hipblaslt_initializationbPT_mmmmmEUlmE1_EvS4_mmT0_,comdat
	.protected	_Z11fill_kernelIaZ21hipblaslt_init_deviceIaEv8ABC_dims24hipblaslt_initializationbPT_mmmmmEUlmE1_EvS4_mmT0_ ; -- Begin function _Z11fill_kernelIaZ21hipblaslt_init_deviceIaEv8ABC_dims24hipblaslt_initializationbPT_mmmmmEUlmE1_EvS4_mmT0_
	.globl	_Z11fill_kernelIaZ21hipblaslt_init_deviceIaEv8ABC_dims24hipblaslt_initializationbPT_mmmmmEUlmE1_EvS4_mmT0_
	.p2align	8
	.type	_Z11fill_kernelIaZ21hipblaslt_init_deviceIaEv8ABC_dims24hipblaslt_initializationbPT_mmmmmEUlmE1_EvS4_mmT0_,@function
_Z11fill_kernelIaZ21hipblaslt_init_deviceIaEv8ABC_dims24hipblaslt_initializationbPT_mmmmmEUlmE1_EvS4_mmT0_: ; @_Z11fill_kernelIaZ21hipblaslt_init_deviceIaEv8ABC_dims24hipblaslt_initializationbPT_mmmmmEUlmE1_EvS4_mmT0_
; %bb.0:
	s_clause 0x1
	s_load_b32 s2, s[0:1], 0x34
	s_load_b128 s[4:7], s[0:1], 0x0
	s_waitcnt lgkmcnt(0)
	s_and_b32 s2, s2, 0xffff
	s_delay_alu instid0(SALU_CYCLE_1) | instskip(SKIP_2) | instid1(VALU_DEP_1)
	v_mad_u64_u32 v[1:2], null, s15, s2, v[0:1]
	v_mov_b32_e32 v2, 0
	s_mov_b32 s2, exec_lo
	v_cmpx_gt_u64_e64 s[6:7], v[1:2]
	s_cbranch_execz .LBB101_10
; %bb.1:
	s_clause 0x1
	s_load_b64 s[2:3], s[0:1], 0x10
	s_load_b128 s[8:11], s[0:1], 0x18
	v_mov_b32_e32 v0, v2
	s_waitcnt lgkmcnt(0)
	v_add_co_u32 v4, s0, v1, s2
	s_delay_alu instid0(VALU_DEP_1) | instskip(NEXT) | instid1(VALU_DEP_1)
	v_add_co_ci_u32_e64 v5, null, 0, s3, s0
	v_or_b32_e32 v1, s9, v5
	s_delay_alu instid0(VALU_DEP_1) | instskip(SKIP_1) | instid1(SALU_CYCLE_1)
	v_cmp_ne_u64_e32 vcc_lo, 0, v[0:1]
                                        ; implicit-def: $vgpr0_vgpr1
	s_and_saveexec_b32 s0, vcc_lo
	s_xor_b32 s1, exec_lo, s0
	s_cbranch_execz .LBB101_3
; %bb.2:
	v_cvt_f32_u32_e32 v0, s8
	v_cvt_f32_u32_e32 v1, s9
	s_sub_u32 s0, 0, s8
	s_subb_u32 s2, 0, s9
	s_delay_alu instid0(VALU_DEP_1) | instskip(NEXT) | instid1(VALU_DEP_1)
	v_fmamk_f32 v0, v1, 0x4f800000, v0
	v_rcp_f32_e32 v0, v0
	s_waitcnt_depctr 0xfff
	v_mul_f32_e32 v0, 0x5f7ffffc, v0
	s_delay_alu instid0(VALU_DEP_1) | instskip(NEXT) | instid1(VALU_DEP_1)
	v_mul_f32_e32 v1, 0x2f800000, v0
	v_trunc_f32_e32 v1, v1
	s_delay_alu instid0(VALU_DEP_1) | instskip(SKIP_1) | instid1(VALU_DEP_2)
	v_fmamk_f32 v0, v1, 0xcf800000, v0
	v_cvt_u32_f32_e32 v1, v1
	v_cvt_u32_f32_e32 v0, v0
	s_delay_alu instid0(VALU_DEP_2) | instskip(NEXT) | instid1(VALU_DEP_2)
	v_mul_lo_u32 v2, s0, v1
	v_mul_hi_u32 v3, s0, v0
	v_mul_lo_u32 v6, s2, v0
	s_delay_alu instid0(VALU_DEP_2) | instskip(SKIP_1) | instid1(VALU_DEP_2)
	v_add_nc_u32_e32 v2, v3, v2
	v_mul_lo_u32 v3, s0, v0
	v_add_nc_u32_e32 v2, v2, v6
	s_delay_alu instid0(VALU_DEP_2) | instskip(NEXT) | instid1(VALU_DEP_2)
	v_mul_hi_u32 v6, v0, v3
	v_mul_lo_u32 v7, v0, v2
	v_mul_hi_u32 v8, v0, v2
	v_mul_hi_u32 v9, v1, v3
	v_mul_lo_u32 v3, v1, v3
	v_mul_hi_u32 v10, v1, v2
	v_mul_lo_u32 v2, v1, v2
	v_add_co_u32 v6, vcc_lo, v6, v7
	v_add_co_ci_u32_e32 v7, vcc_lo, 0, v8, vcc_lo
	s_delay_alu instid0(VALU_DEP_2) | instskip(NEXT) | instid1(VALU_DEP_2)
	v_add_co_u32 v3, vcc_lo, v6, v3
	v_add_co_ci_u32_e32 v3, vcc_lo, v7, v9, vcc_lo
	v_add_co_ci_u32_e32 v6, vcc_lo, 0, v10, vcc_lo
	s_delay_alu instid0(VALU_DEP_2) | instskip(NEXT) | instid1(VALU_DEP_2)
	v_add_co_u32 v2, vcc_lo, v3, v2
	v_add_co_ci_u32_e32 v3, vcc_lo, 0, v6, vcc_lo
	s_delay_alu instid0(VALU_DEP_2) | instskip(NEXT) | instid1(VALU_DEP_2)
	v_add_co_u32 v0, vcc_lo, v0, v2
	v_add_co_ci_u32_e32 v1, vcc_lo, v1, v3, vcc_lo
	s_delay_alu instid0(VALU_DEP_2) | instskip(SKIP_1) | instid1(VALU_DEP_3)
	v_mul_hi_u32 v2, s0, v0
	v_mul_lo_u32 v6, s2, v0
	v_mul_lo_u32 v3, s0, v1
	s_delay_alu instid0(VALU_DEP_1) | instskip(SKIP_1) | instid1(VALU_DEP_2)
	v_add_nc_u32_e32 v2, v2, v3
	v_mul_lo_u32 v3, s0, v0
	v_add_nc_u32_e32 v2, v2, v6
	s_delay_alu instid0(VALU_DEP_2) | instskip(NEXT) | instid1(VALU_DEP_2)
	v_mul_hi_u32 v6, v0, v3
	v_mul_lo_u32 v7, v0, v2
	v_mul_hi_u32 v8, v0, v2
	v_mul_hi_u32 v9, v1, v3
	v_mul_lo_u32 v3, v1, v3
	v_mul_hi_u32 v10, v1, v2
	v_mul_lo_u32 v2, v1, v2
	v_add_co_u32 v6, vcc_lo, v6, v7
	v_add_co_ci_u32_e32 v7, vcc_lo, 0, v8, vcc_lo
	s_delay_alu instid0(VALU_DEP_2) | instskip(NEXT) | instid1(VALU_DEP_2)
	v_add_co_u32 v3, vcc_lo, v6, v3
	v_add_co_ci_u32_e32 v3, vcc_lo, v7, v9, vcc_lo
	v_add_co_ci_u32_e32 v6, vcc_lo, 0, v10, vcc_lo
	s_delay_alu instid0(VALU_DEP_2) | instskip(NEXT) | instid1(VALU_DEP_2)
	v_add_co_u32 v2, vcc_lo, v3, v2
	v_add_co_ci_u32_e32 v3, vcc_lo, 0, v6, vcc_lo
	s_delay_alu instid0(VALU_DEP_2) | instskip(NEXT) | instid1(VALU_DEP_2)
	v_add_co_u32 v6, vcc_lo, v0, v2
	v_add_co_ci_u32_e32 v8, vcc_lo, v1, v3, vcc_lo
	s_delay_alu instid0(VALU_DEP_2) | instskip(SKIP_1) | instid1(VALU_DEP_3)
	v_mul_hi_u32 v9, v4, v6
	v_mad_u64_u32 v[2:3], null, v5, v6, 0
	v_mad_u64_u32 v[0:1], null, v4, v8, 0
	;; [unrolled: 1-line block ×3, first 2 shown]
	s_delay_alu instid0(VALU_DEP_2) | instskip(NEXT) | instid1(VALU_DEP_3)
	v_add_co_u32 v0, vcc_lo, v9, v0
	v_add_co_ci_u32_e32 v1, vcc_lo, 0, v1, vcc_lo
	s_delay_alu instid0(VALU_DEP_2) | instskip(NEXT) | instid1(VALU_DEP_2)
	v_add_co_u32 v0, vcc_lo, v0, v2
	v_add_co_ci_u32_e32 v0, vcc_lo, v1, v3, vcc_lo
	v_add_co_ci_u32_e32 v1, vcc_lo, 0, v7, vcc_lo
	s_delay_alu instid0(VALU_DEP_2) | instskip(NEXT) | instid1(VALU_DEP_2)
	v_add_co_u32 v2, vcc_lo, v0, v6
	v_add_co_ci_u32_e32 v3, vcc_lo, 0, v1, vcc_lo
	s_delay_alu instid0(VALU_DEP_2) | instskip(SKIP_1) | instid1(VALU_DEP_3)
	v_mul_lo_u32 v6, s9, v2
	v_mad_u64_u32 v[0:1], null, s8, v2, 0
	v_mul_lo_u32 v2, s8, v3
	s_delay_alu instid0(VALU_DEP_2) | instskip(NEXT) | instid1(VALU_DEP_2)
	v_sub_co_u32 v0, vcc_lo, v4, v0
	v_add3_u32 v1, v1, v2, v6
	s_delay_alu instid0(VALU_DEP_1) | instskip(NEXT) | instid1(VALU_DEP_1)
	v_sub_nc_u32_e32 v2, v5, v1
	v_subrev_co_ci_u32_e64 v2, s0, s9, v2, vcc_lo
	v_sub_co_ci_u32_e32 v1, vcc_lo, v5, v1, vcc_lo
	v_sub_co_u32 v3, vcc_lo, v0, s8
	s_delay_alu instid0(VALU_DEP_1) | instskip(SKIP_3) | instid1(VALU_DEP_3)
	v_subrev_co_ci_u32_e64 v6, s0, 0, v2, vcc_lo
	v_cmp_le_u32_e64 s0, s8, v0
	v_subrev_co_ci_u32_e32 v2, vcc_lo, s9, v2, vcc_lo
	v_cmp_le_u32_e32 vcc_lo, s9, v1
	v_cndmask_b32_e64 v7, 0, -1, s0
	v_cmp_le_u32_e64 s0, s8, v3
	v_cndmask_b32_e64 v10, 0, -1, vcc_lo
	v_cmp_eq_u32_e32 vcc_lo, s9, v6
	s_delay_alu instid0(VALU_DEP_3) | instskip(SKIP_1) | instid1(VALU_DEP_1)
	v_cndmask_b32_e64 v8, 0, -1, s0
	v_cmp_le_u32_e64 s0, s9, v6
	v_cndmask_b32_e64 v9, 0, -1, s0
	v_cmp_eq_u32_e64 s0, s9, v1
	s_delay_alu instid0(VALU_DEP_2) | instskip(SKIP_2) | instid1(VALU_DEP_3)
	v_cndmask_b32_e32 v8, v9, v8, vcc_lo
	v_sub_co_u32 v9, vcc_lo, v3, s8
	v_subrev_co_ci_u32_e32 v2, vcc_lo, 0, v2, vcc_lo
	v_cmp_ne_u32_e32 vcc_lo, 0, v8
	v_cndmask_b32_e64 v7, v10, v7, s0
	s_delay_alu instid0(VALU_DEP_3) | instskip(NEXT) | instid1(VALU_DEP_2)
	v_dual_cndmask_b32 v2, v6, v2 :: v_dual_cndmask_b32 v3, v3, v9
	v_cmp_ne_u32_e32 vcc_lo, 0, v7
	s_delay_alu instid0(VALU_DEP_2)
	v_dual_cndmask_b32 v1, v1, v2 :: v_dual_cndmask_b32 v0, v0, v3
.LBB101_3:
	s_and_not1_saveexec_b32 s0, s1
	s_cbranch_execz .LBB101_5
; %bb.4:
	v_cvt_f32_u32_e32 v0, s8
	s_sub_i32 s1, 0, s8
	s_delay_alu instid0(VALU_DEP_1) | instskip(SKIP_2) | instid1(VALU_DEP_1)
	v_rcp_iflag_f32_e32 v0, v0
	s_waitcnt_depctr 0xfff
	v_mul_f32_e32 v0, 0x4f7ffffe, v0
	v_cvt_u32_f32_e32 v0, v0
	s_delay_alu instid0(VALU_DEP_1) | instskip(NEXT) | instid1(VALU_DEP_1)
	v_mul_lo_u32 v1, s1, v0
	v_mul_hi_u32 v1, v0, v1
	s_delay_alu instid0(VALU_DEP_1) | instskip(NEXT) | instid1(VALU_DEP_1)
	v_add_nc_u32_e32 v0, v0, v1
	v_mul_hi_u32 v0, v4, v0
	s_delay_alu instid0(VALU_DEP_1) | instskip(NEXT) | instid1(VALU_DEP_1)
	v_mul_lo_u32 v0, v0, s8
	v_sub_nc_u32_e32 v0, v4, v0
	s_delay_alu instid0(VALU_DEP_1) | instskip(SKIP_1) | instid1(VALU_DEP_2)
	v_subrev_nc_u32_e32 v1, s8, v0
	v_cmp_le_u32_e32 vcc_lo, s8, v0
	v_cndmask_b32_e32 v0, v0, v1, vcc_lo
	s_delay_alu instid0(VALU_DEP_1) | instskip(SKIP_1) | instid1(VALU_DEP_2)
	v_subrev_nc_u32_e32 v1, s8, v0
	v_cmp_le_u32_e32 vcc_lo, s8, v0
	v_dual_cndmask_b32 v0, v0, v1 :: v_dual_mov_b32 v1, 0
.LBB101_5:
	s_or_b32 exec_lo, exec_lo, s0
	s_delay_alu instid0(VALU_DEP_1) | instskip(SKIP_1) | instid1(VALU_DEP_1)
	v_or_b32_e32 v3, s11, v1
	v_mov_b32_e32 v2, 0
	v_cmp_ne_u64_e32 vcc_lo, 0, v[2:3]
                                        ; implicit-def: $vgpr2_vgpr3
	s_and_saveexec_b32 s0, vcc_lo
	s_delay_alu instid0(SALU_CYCLE_1)
	s_xor_b32 s1, exec_lo, s0
	s_cbranch_execz .LBB101_7
; %bb.6:
	v_cvt_f32_u32_e32 v2, s10
	v_cvt_f32_u32_e32 v3, s11
	s_sub_u32 s0, 0, s10
	s_subb_u32 s2, 0, s11
	s_delay_alu instid0(VALU_DEP_1) | instskip(NEXT) | instid1(VALU_DEP_1)
	v_fmamk_f32 v2, v3, 0x4f800000, v2
	v_rcp_f32_e32 v2, v2
	s_waitcnt_depctr 0xfff
	v_mul_f32_e32 v2, 0x5f7ffffc, v2
	s_delay_alu instid0(VALU_DEP_1) | instskip(NEXT) | instid1(VALU_DEP_1)
	v_mul_f32_e32 v3, 0x2f800000, v2
	v_trunc_f32_e32 v3, v3
	s_delay_alu instid0(VALU_DEP_1) | instskip(SKIP_1) | instid1(VALU_DEP_2)
	v_fmamk_f32 v2, v3, 0xcf800000, v2
	v_cvt_u32_f32_e32 v3, v3
	v_cvt_u32_f32_e32 v2, v2
	s_delay_alu instid0(VALU_DEP_2) | instskip(NEXT) | instid1(VALU_DEP_2)
	v_mul_lo_u32 v6, s0, v3
	v_mul_hi_u32 v7, s0, v2
	v_mul_lo_u32 v8, s2, v2
	s_delay_alu instid0(VALU_DEP_2) | instskip(SKIP_1) | instid1(VALU_DEP_2)
	v_add_nc_u32_e32 v6, v7, v6
	v_mul_lo_u32 v7, s0, v2
	v_add_nc_u32_e32 v6, v6, v8
	s_delay_alu instid0(VALU_DEP_2) | instskip(NEXT) | instid1(VALU_DEP_2)
	v_mul_hi_u32 v8, v2, v7
	v_mul_lo_u32 v9, v2, v6
	v_mul_hi_u32 v10, v2, v6
	v_mul_hi_u32 v11, v3, v7
	v_mul_lo_u32 v7, v3, v7
	v_mul_hi_u32 v12, v3, v6
	v_mul_lo_u32 v6, v3, v6
	v_add_co_u32 v8, vcc_lo, v8, v9
	v_add_co_ci_u32_e32 v9, vcc_lo, 0, v10, vcc_lo
	s_delay_alu instid0(VALU_DEP_2) | instskip(NEXT) | instid1(VALU_DEP_2)
	v_add_co_u32 v7, vcc_lo, v8, v7
	v_add_co_ci_u32_e32 v7, vcc_lo, v9, v11, vcc_lo
	v_add_co_ci_u32_e32 v8, vcc_lo, 0, v12, vcc_lo
	s_delay_alu instid0(VALU_DEP_2) | instskip(NEXT) | instid1(VALU_DEP_2)
	v_add_co_u32 v6, vcc_lo, v7, v6
	v_add_co_ci_u32_e32 v7, vcc_lo, 0, v8, vcc_lo
	s_delay_alu instid0(VALU_DEP_2) | instskip(NEXT) | instid1(VALU_DEP_2)
	v_add_co_u32 v2, vcc_lo, v2, v6
	v_add_co_ci_u32_e32 v3, vcc_lo, v3, v7, vcc_lo
	s_delay_alu instid0(VALU_DEP_2) | instskip(SKIP_1) | instid1(VALU_DEP_3)
	v_mul_hi_u32 v6, s0, v2
	v_mul_lo_u32 v8, s2, v2
	v_mul_lo_u32 v7, s0, v3
	s_delay_alu instid0(VALU_DEP_1) | instskip(SKIP_1) | instid1(VALU_DEP_2)
	v_add_nc_u32_e32 v6, v6, v7
	v_mul_lo_u32 v7, s0, v2
	v_add_nc_u32_e32 v6, v6, v8
	s_delay_alu instid0(VALU_DEP_2) | instskip(NEXT) | instid1(VALU_DEP_2)
	v_mul_hi_u32 v8, v2, v7
	v_mul_lo_u32 v9, v2, v6
	v_mul_hi_u32 v10, v2, v6
	v_mul_hi_u32 v11, v3, v7
	v_mul_lo_u32 v7, v3, v7
	v_mul_hi_u32 v12, v3, v6
	v_mul_lo_u32 v6, v3, v6
	v_add_co_u32 v8, vcc_lo, v8, v9
	v_add_co_ci_u32_e32 v9, vcc_lo, 0, v10, vcc_lo
	s_delay_alu instid0(VALU_DEP_2) | instskip(NEXT) | instid1(VALU_DEP_2)
	v_add_co_u32 v7, vcc_lo, v8, v7
	v_add_co_ci_u32_e32 v7, vcc_lo, v9, v11, vcc_lo
	v_add_co_ci_u32_e32 v8, vcc_lo, 0, v12, vcc_lo
	s_delay_alu instid0(VALU_DEP_2) | instskip(NEXT) | instid1(VALU_DEP_2)
	v_add_co_u32 v6, vcc_lo, v7, v6
	v_add_co_ci_u32_e32 v7, vcc_lo, 0, v8, vcc_lo
	s_delay_alu instid0(VALU_DEP_2) | instskip(NEXT) | instid1(VALU_DEP_2)
	v_add_co_u32 v8, vcc_lo, v2, v6
	v_add_co_ci_u32_e32 v10, vcc_lo, v3, v7, vcc_lo
	s_delay_alu instid0(VALU_DEP_2) | instskip(SKIP_1) | instid1(VALU_DEP_3)
	v_mul_hi_u32 v11, v0, v8
	v_mad_u64_u32 v[6:7], null, v1, v8, 0
	v_mad_u64_u32 v[2:3], null, v0, v10, 0
	;; [unrolled: 1-line block ×3, first 2 shown]
	s_delay_alu instid0(VALU_DEP_2) | instskip(NEXT) | instid1(VALU_DEP_3)
	v_add_co_u32 v2, vcc_lo, v11, v2
	v_add_co_ci_u32_e32 v3, vcc_lo, 0, v3, vcc_lo
	s_delay_alu instid0(VALU_DEP_2) | instskip(NEXT) | instid1(VALU_DEP_2)
	v_add_co_u32 v2, vcc_lo, v2, v6
	v_add_co_ci_u32_e32 v2, vcc_lo, v3, v7, vcc_lo
	v_add_co_ci_u32_e32 v3, vcc_lo, 0, v9, vcc_lo
	s_delay_alu instid0(VALU_DEP_2) | instskip(NEXT) | instid1(VALU_DEP_2)
	v_add_co_u32 v6, vcc_lo, v2, v8
	v_add_co_ci_u32_e32 v7, vcc_lo, 0, v3, vcc_lo
	s_delay_alu instid0(VALU_DEP_2) | instskip(SKIP_1) | instid1(VALU_DEP_3)
	v_mul_lo_u32 v8, s11, v6
	v_mad_u64_u32 v[2:3], null, s10, v6, 0
	v_mul_lo_u32 v7, s10, v7
	s_delay_alu instid0(VALU_DEP_2) | instskip(NEXT) | instid1(VALU_DEP_2)
	v_sub_co_u32 v2, vcc_lo, v0, v2
	v_add3_u32 v3, v3, v7, v8
	v_add_co_u32 v8, s0, v6, 2
	s_delay_alu instid0(VALU_DEP_2) | instskip(NEXT) | instid1(VALU_DEP_1)
	v_sub_nc_u32_e32 v7, v1, v3
	v_subrev_co_ci_u32_e64 v7, s0, s11, v7, vcc_lo
	v_sub_co_u32 v9, s0, v2, s10
	v_sub_co_ci_u32_e32 v1, vcc_lo, v1, v3, vcc_lo
	s_delay_alu instid0(VALU_DEP_3) | instskip(NEXT) | instid1(VALU_DEP_3)
	v_subrev_co_ci_u32_e64 v7, s0, 0, v7, s0
	v_cmp_le_u32_e32 vcc_lo, s10, v9
	v_cndmask_b32_e64 v3, 0, -1, vcc_lo
	s_delay_alu instid0(VALU_DEP_3)
	v_cmp_le_u32_e32 vcc_lo, s11, v7
	v_cndmask_b32_e64 v9, 0, -1, vcc_lo
	v_cmp_le_u32_e32 vcc_lo, s10, v2
	v_cndmask_b32_e64 v2, 0, -1, vcc_lo
	;; [unrolled: 2-line block ×3, first 2 shown]
	v_cmp_eq_u32_e32 vcc_lo, s11, v7
	v_cndmask_b32_e32 v3, v9, v3, vcc_lo
	v_add_co_u32 v7, vcc_lo, v6, 1
	v_cmp_eq_u32_e32 vcc_lo, s11, v1
	v_cndmask_b32_e32 v1, v10, v2, vcc_lo
	s_delay_alu instid0(VALU_DEP_4) | instskip(NEXT) | instid1(VALU_DEP_4)
	v_cmp_ne_u32_e32 vcc_lo, 0, v3
	v_cndmask_b32_e32 v2, v7, v8, vcc_lo
	s_delay_alu instid0(VALU_DEP_3) | instskip(NEXT) | instid1(VALU_DEP_2)
	v_cmp_ne_u32_e32 vcc_lo, 0, v1
	v_cndmask_b32_e32 v2, v6, v2, vcc_lo
.LBB101_7:
	s_and_not1_saveexec_b32 s0, s1
	s_cbranch_execz .LBB101_9
; %bb.8:
	v_cvt_f32_u32_e32 v1, s10
	s_sub_i32 s1, 0, s10
	s_delay_alu instid0(VALU_DEP_1) | instskip(SKIP_2) | instid1(VALU_DEP_1)
	v_rcp_iflag_f32_e32 v1, v1
	s_waitcnt_depctr 0xfff
	v_mul_f32_e32 v1, 0x4f7ffffe, v1
	v_cvt_u32_f32_e32 v1, v1
	s_delay_alu instid0(VALU_DEP_1) | instskip(NEXT) | instid1(VALU_DEP_1)
	v_mul_lo_u32 v2, s1, v1
	v_mul_hi_u32 v2, v1, v2
	s_delay_alu instid0(VALU_DEP_1) | instskip(NEXT) | instid1(VALU_DEP_1)
	v_add_nc_u32_e32 v1, v1, v2
	v_mul_hi_u32 v1, v0, v1
	s_delay_alu instid0(VALU_DEP_1) | instskip(SKIP_1) | instid1(VALU_DEP_2)
	v_mul_lo_u32 v2, v1, s10
	v_add_nc_u32_e32 v3, 1, v1
	v_sub_nc_u32_e32 v2, v0, v2
	s_delay_alu instid0(VALU_DEP_1) | instskip(SKIP_1) | instid1(VALU_DEP_2)
	v_subrev_nc_u32_e32 v6, s10, v2
	v_cmp_le_u32_e32 vcc_lo, s10, v2
	v_dual_cndmask_b32 v2, v2, v6 :: v_dual_cndmask_b32 v1, v1, v3
	s_delay_alu instid0(VALU_DEP_1) | instskip(NEXT) | instid1(VALU_DEP_2)
	v_cmp_le_u32_e32 vcc_lo, s10, v2
	v_add_nc_u32_e32 v3, 1, v1
	s_delay_alu instid0(VALU_DEP_1)
	v_cndmask_b32_e32 v2, v1, v3, vcc_lo
.LBB101_9:
	s_or_b32 exec_lo, exec_lo, s0
	s_mov_b32 s0, 0x19660d
	s_delay_alu instid0(SALU_CYCLE_1) | instskip(NEXT) | instid1(VALU_DEP_1)
	v_mad_u64_u32 v[6:7], null, v4, s0, 0x3c6ef35f
	v_mov_b32_e32 v1, v7
	s_delay_alu instid0(VALU_DEP_1) | instskip(NEXT) | instid1(VALU_DEP_1)
	v_mad_u64_u32 v[7:8], null, 0x19660d, v5, v[1:2]
	v_lshlrev_b64 v[8:9], 13, v[6:7]
	s_delay_alu instid0(VALU_DEP_1) | instskip(NEXT) | instid1(VALU_DEP_2)
	v_xor_b32_e32 v7, v9, v7
	v_xor_b32_e32 v6, v8, v6
	s_delay_alu instid0(VALU_DEP_1) | instskip(NEXT) | instid1(VALU_DEP_1)
	v_lshrrev_b64 v[8:9], 17, v[6:7]
	v_xor_b32_e32 v7, v9, v7
	s_delay_alu instid0(VALU_DEP_2) | instskip(NEXT) | instid1(VALU_DEP_1)
	v_xor_b32_e32 v6, v8, v6
	v_lshlrev_b64 v[8:9], 5, v[6:7]
	s_delay_alu instid0(VALU_DEP_1) | instskip(NEXT) | instid1(VALU_DEP_2)
	v_xor_b32_e32 v7, v9, v7
	v_xor_b32_e32 v6, v8, v6
	s_delay_alu instid0(VALU_DEP_1) | instskip(NEXT) | instid1(VALU_DEP_1)
	v_lshlrev_b64 v[8:9], 13, v[6:7]
	v_xor_b32_e32 v7, v9, v7
	s_delay_alu instid0(VALU_DEP_2) | instskip(NEXT) | instid1(VALU_DEP_1)
	v_xor_b32_e32 v6, v8, v6
	v_lshrrev_b64 v[8:9], 17, v[6:7]
	s_delay_alu instid0(VALU_DEP_1) | instskip(NEXT) | instid1(VALU_DEP_2)
	v_xor_b32_e32 v7, v9, v7
	v_xor_b32_e32 v6, v8, v6
	s_delay_alu instid0(VALU_DEP_1) | instskip(NEXT) | instid1(VALU_DEP_1)
	v_lshlrev_b64 v[8:9], 5, v[6:7]
	v_xor_b32_e32 v7, v9, v7
	s_delay_alu instid0(VALU_DEP_2) | instskip(NEXT) | instid1(VALU_DEP_1)
	v_xor_b32_e32 v6, v8, v6
	v_lshlrev_b64 v[8:9], 13, v[6:7]
	s_delay_alu instid0(VALU_DEP_1) | instskip(NEXT) | instid1(VALU_DEP_2)
	v_xor_b32_e32 v1, v9, v7
	v_xor_b32_e32 v3, v8, v6
	v_mul_lo_u32 v6, v2, s10
	s_delay_alu instid0(VALU_DEP_2) | instskip(NEXT) | instid1(VALU_DEP_2)
	v_alignbit_b32 v1, v1, v3, 17
	v_sub_nc_u32_e32 v0, v0, v6
	s_delay_alu instid0(VALU_DEP_2) | instskip(NEXT) | instid1(VALU_DEP_2)
	v_xor_b32_e32 v1, v1, v3
	v_xor_b32_e32 v0, v0, v2
	s_delay_alu instid0(VALU_DEP_2) | instskip(NEXT) | instid1(VALU_DEP_2)
	v_lshlrev_b32_e32 v3, 5, v1
	v_and_b32_e32 v0, 1, v0
	s_delay_alu instid0(VALU_DEP_2) | instskip(NEXT) | instid1(VALU_DEP_2)
	v_xor_b32_e32 v1, v3, v1
	v_cmp_eq_u32_e32 vcc_lo, 0, v0
	s_delay_alu instid0(VALU_DEP_2) | instskip(NEXT) | instid1(VALU_DEP_1)
	v_mul_hi_u32 v3, 0xaaaaaaab, v1
	v_lshrrev_b32_e32 v3, 1, v3
	s_delay_alu instid0(VALU_DEP_1) | instskip(NEXT) | instid1(VALU_DEP_1)
	v_lshl_add_u32 v3, v3, 1, v3
	v_sub_nc_u32_e32 v1, v1, v3
	s_delay_alu instid0(VALU_DEP_1) | instskip(SKIP_1) | instid1(VALU_DEP_1)
	v_add_nc_u16 v2, v1, 1
	v_xor_b32_e32 v1, -1, v1
	v_cndmask_b32_e32 v2, v2, v1, vcc_lo
	v_add_co_u32 v0, vcc_lo, s4, v4
	v_add_co_ci_u32_e32 v1, vcc_lo, s5, v5, vcc_lo
	global_store_b8 v[0:1], v2, off
.LBB101_10:
	s_nop 0
	s_sendmsg sendmsg(MSG_DEALLOC_VGPRS)
	s_endpgm
	.section	.rodata,"a",@progbits
	.p2align	6, 0x0
	.amdhsa_kernel _Z11fill_kernelIaZ21hipblaslt_init_deviceIaEv8ABC_dims24hipblaslt_initializationbPT_mmmmmEUlmE1_EvS4_mmT0_
		.amdhsa_group_segment_fixed_size 0
		.amdhsa_private_segment_fixed_size 0
		.amdhsa_kernarg_size 296
		.amdhsa_user_sgpr_count 15
		.amdhsa_user_sgpr_dispatch_ptr 0
		.amdhsa_user_sgpr_queue_ptr 0
		.amdhsa_user_sgpr_kernarg_segment_ptr 1
		.amdhsa_user_sgpr_dispatch_id 0
		.amdhsa_user_sgpr_private_segment_size 0
		.amdhsa_wavefront_size32 1
		.amdhsa_uses_dynamic_stack 0
		.amdhsa_enable_private_segment 0
		.amdhsa_system_sgpr_workgroup_id_x 1
		.amdhsa_system_sgpr_workgroup_id_y 0
		.amdhsa_system_sgpr_workgroup_id_z 0
		.amdhsa_system_sgpr_workgroup_info 0
		.amdhsa_system_vgpr_workitem_id 0
		.amdhsa_next_free_vgpr 13
		.amdhsa_next_free_sgpr 16
		.amdhsa_reserve_vcc 1
		.amdhsa_float_round_mode_32 0
		.amdhsa_float_round_mode_16_64 0
		.amdhsa_float_denorm_mode_32 3
		.amdhsa_float_denorm_mode_16_64 3
		.amdhsa_dx10_clamp 1
		.amdhsa_ieee_mode 1
		.amdhsa_fp16_overflow 0
		.amdhsa_workgroup_processor_mode 1
		.amdhsa_memory_ordered 1
		.amdhsa_forward_progress 0
		.amdhsa_shared_vgpr_count 0
		.amdhsa_exception_fp_ieee_invalid_op 0
		.amdhsa_exception_fp_denorm_src 0
		.amdhsa_exception_fp_ieee_div_zero 0
		.amdhsa_exception_fp_ieee_overflow 0
		.amdhsa_exception_fp_ieee_underflow 0
		.amdhsa_exception_fp_ieee_inexact 0
		.amdhsa_exception_int_div_zero 0
	.end_amdhsa_kernel
	.section	.text._Z11fill_kernelIaZ21hipblaslt_init_deviceIaEv8ABC_dims24hipblaslt_initializationbPT_mmmmmEUlmE1_EvS4_mmT0_,"axG",@progbits,_Z11fill_kernelIaZ21hipblaslt_init_deviceIaEv8ABC_dims24hipblaslt_initializationbPT_mmmmmEUlmE1_EvS4_mmT0_,comdat
.Lfunc_end101:
	.size	_Z11fill_kernelIaZ21hipblaslt_init_deviceIaEv8ABC_dims24hipblaslt_initializationbPT_mmmmmEUlmE1_EvS4_mmT0_, .Lfunc_end101-_Z11fill_kernelIaZ21hipblaslt_init_deviceIaEv8ABC_dims24hipblaslt_initializationbPT_mmmmmEUlmE1_EvS4_mmT0_
                                        ; -- End function
	.section	.AMDGPU.csdata,"",@progbits
; Kernel info:
; codeLenInByte = 2232
; NumSgprs: 18
; NumVgprs: 13
; ScratchSize: 0
; MemoryBound: 0
; FloatMode: 240
; IeeeMode: 1
; LDSByteSize: 0 bytes/workgroup (compile time only)
; SGPRBlocks: 2
; VGPRBlocks: 1
; NumSGPRsForWavesPerEU: 18
; NumVGPRsForWavesPerEU: 13
; Occupancy: 16
; WaveLimiterHint : 0
; COMPUTE_PGM_RSRC2:SCRATCH_EN: 0
; COMPUTE_PGM_RSRC2:USER_SGPR: 15
; COMPUTE_PGM_RSRC2:TRAP_HANDLER: 0
; COMPUTE_PGM_RSRC2:TGID_X_EN: 1
; COMPUTE_PGM_RSRC2:TGID_Y_EN: 0
; COMPUTE_PGM_RSRC2:TGID_Z_EN: 0
; COMPUTE_PGM_RSRC2:TIDIG_COMP_CNT: 0
	.section	.text._Z11fill_kernelIaZ21hipblaslt_init_deviceIaEv8ABC_dims24hipblaslt_initializationbPT_mmmmmEUlmE2_EvS4_mmT0_,"axG",@progbits,_Z11fill_kernelIaZ21hipblaslt_init_deviceIaEv8ABC_dims24hipblaslt_initializationbPT_mmmmmEUlmE2_EvS4_mmT0_,comdat
	.protected	_Z11fill_kernelIaZ21hipblaslt_init_deviceIaEv8ABC_dims24hipblaslt_initializationbPT_mmmmmEUlmE2_EvS4_mmT0_ ; -- Begin function _Z11fill_kernelIaZ21hipblaslt_init_deviceIaEv8ABC_dims24hipblaslt_initializationbPT_mmmmmEUlmE2_EvS4_mmT0_
	.globl	_Z11fill_kernelIaZ21hipblaslt_init_deviceIaEv8ABC_dims24hipblaslt_initializationbPT_mmmmmEUlmE2_EvS4_mmT0_
	.p2align	8
	.type	_Z11fill_kernelIaZ21hipblaslt_init_deviceIaEv8ABC_dims24hipblaslt_initializationbPT_mmmmmEUlmE2_EvS4_mmT0_,@function
_Z11fill_kernelIaZ21hipblaslt_init_deviceIaEv8ABC_dims24hipblaslt_initializationbPT_mmmmmEUlmE2_EvS4_mmT0_: ; @_Z11fill_kernelIaZ21hipblaslt_init_deviceIaEv8ABC_dims24hipblaslt_initializationbPT_mmmmmEUlmE2_EvS4_mmT0_
; %bb.0:
	s_clause 0x1
	s_load_b32 s2, s[0:1], 0x44
	s_load_b128 s[16:19], s[0:1], 0x0
	s_waitcnt lgkmcnt(0)
	s_and_b32 s2, s2, 0xffff
	s_delay_alu instid0(SALU_CYCLE_1) | instskip(SKIP_2) | instid1(VALU_DEP_1)
	v_mad_u64_u32 v[1:2], null, s15, s2, v[0:1]
	v_mov_b32_e32 v2, 0
	s_mov_b32 s2, exec_lo
	v_cmpx_gt_u64_e64 s[18:19], v[1:2]
	s_cbranch_execz .LBB102_14
; %bb.1:
	s_clause 0x1
	s_load_b64 s[2:3], s[0:1], 0x10
	s_load_b256 s[4:11], s[0:1], 0x18
	v_mov_b32_e32 v0, v2
	s_waitcnt lgkmcnt(0)
	v_add_co_u32 v6, s0, v1, s2
	s_delay_alu instid0(VALU_DEP_1) | instskip(NEXT) | instid1(VALU_DEP_1)
	v_add_co_ci_u32_e64 v7, null, 0, s3, s0
	v_or_b32_e32 v1, s9, v7
	s_delay_alu instid0(VALU_DEP_1) | instskip(SKIP_1) | instid1(SALU_CYCLE_1)
	v_cmp_ne_u64_e32 vcc_lo, 0, v[0:1]
                                        ; implicit-def: $vgpr0_vgpr1
	s_and_saveexec_b32 s0, vcc_lo
	s_xor_b32 s1, exec_lo, s0
	s_cbranch_execz .LBB102_3
; %bb.2:
	v_cvt_f32_u32_e32 v0, s8
	v_cvt_f32_u32_e32 v1, s9
	s_sub_u32 s0, 0, s8
	s_subb_u32 s2, 0, s9
	s_delay_alu instid0(VALU_DEP_1) | instskip(NEXT) | instid1(VALU_DEP_1)
	v_fmamk_f32 v0, v1, 0x4f800000, v0
	v_rcp_f32_e32 v0, v0
	s_waitcnt_depctr 0xfff
	v_mul_f32_e32 v0, 0x5f7ffffc, v0
	s_delay_alu instid0(VALU_DEP_1) | instskip(NEXT) | instid1(VALU_DEP_1)
	v_mul_f32_e32 v1, 0x2f800000, v0
	v_trunc_f32_e32 v1, v1
	s_delay_alu instid0(VALU_DEP_1) | instskip(SKIP_1) | instid1(VALU_DEP_2)
	v_fmamk_f32 v0, v1, 0xcf800000, v0
	v_cvt_u32_f32_e32 v1, v1
	v_cvt_u32_f32_e32 v0, v0
	s_delay_alu instid0(VALU_DEP_2) | instskip(NEXT) | instid1(VALU_DEP_2)
	v_mul_lo_u32 v2, s0, v1
	v_mul_hi_u32 v3, s0, v0
	v_mul_lo_u32 v4, s2, v0
	s_delay_alu instid0(VALU_DEP_2) | instskip(SKIP_1) | instid1(VALU_DEP_2)
	v_add_nc_u32_e32 v2, v3, v2
	v_mul_lo_u32 v3, s0, v0
	v_add_nc_u32_e32 v2, v2, v4
	s_delay_alu instid0(VALU_DEP_2) | instskip(NEXT) | instid1(VALU_DEP_2)
	v_mul_hi_u32 v4, v0, v3
	v_mul_lo_u32 v5, v0, v2
	v_mul_hi_u32 v8, v0, v2
	v_mul_hi_u32 v9, v1, v3
	v_mul_lo_u32 v3, v1, v3
	v_mul_hi_u32 v10, v1, v2
	v_mul_lo_u32 v2, v1, v2
	v_add_co_u32 v4, vcc_lo, v4, v5
	v_add_co_ci_u32_e32 v5, vcc_lo, 0, v8, vcc_lo
	s_delay_alu instid0(VALU_DEP_2) | instskip(NEXT) | instid1(VALU_DEP_2)
	v_add_co_u32 v3, vcc_lo, v4, v3
	v_add_co_ci_u32_e32 v3, vcc_lo, v5, v9, vcc_lo
	v_add_co_ci_u32_e32 v4, vcc_lo, 0, v10, vcc_lo
	s_delay_alu instid0(VALU_DEP_2) | instskip(NEXT) | instid1(VALU_DEP_2)
	v_add_co_u32 v2, vcc_lo, v3, v2
	v_add_co_ci_u32_e32 v3, vcc_lo, 0, v4, vcc_lo
	s_delay_alu instid0(VALU_DEP_2) | instskip(NEXT) | instid1(VALU_DEP_2)
	v_add_co_u32 v0, vcc_lo, v0, v2
	v_add_co_ci_u32_e32 v1, vcc_lo, v1, v3, vcc_lo
	s_delay_alu instid0(VALU_DEP_2) | instskip(SKIP_1) | instid1(VALU_DEP_3)
	v_mul_hi_u32 v2, s0, v0
	v_mul_lo_u32 v4, s2, v0
	v_mul_lo_u32 v3, s0, v1
	s_delay_alu instid0(VALU_DEP_1) | instskip(SKIP_1) | instid1(VALU_DEP_2)
	v_add_nc_u32_e32 v2, v2, v3
	v_mul_lo_u32 v3, s0, v0
	v_add_nc_u32_e32 v2, v2, v4
	s_delay_alu instid0(VALU_DEP_2) | instskip(NEXT) | instid1(VALU_DEP_2)
	v_mul_hi_u32 v4, v0, v3
	v_mul_lo_u32 v5, v0, v2
	v_mul_hi_u32 v8, v0, v2
	v_mul_hi_u32 v9, v1, v3
	v_mul_lo_u32 v3, v1, v3
	v_mul_hi_u32 v10, v1, v2
	v_mul_lo_u32 v2, v1, v2
	v_add_co_u32 v4, vcc_lo, v4, v5
	v_add_co_ci_u32_e32 v5, vcc_lo, 0, v8, vcc_lo
	s_delay_alu instid0(VALU_DEP_2) | instskip(NEXT) | instid1(VALU_DEP_2)
	v_add_co_u32 v3, vcc_lo, v4, v3
	v_add_co_ci_u32_e32 v3, vcc_lo, v5, v9, vcc_lo
	v_add_co_ci_u32_e32 v4, vcc_lo, 0, v10, vcc_lo
	s_delay_alu instid0(VALU_DEP_2) | instskip(NEXT) | instid1(VALU_DEP_2)
	v_add_co_u32 v2, vcc_lo, v3, v2
	v_add_co_ci_u32_e32 v3, vcc_lo, 0, v4, vcc_lo
	s_delay_alu instid0(VALU_DEP_2) | instskip(NEXT) | instid1(VALU_DEP_2)
	v_add_co_u32 v4, vcc_lo, v0, v2
	v_add_co_ci_u32_e32 v8, vcc_lo, v1, v3, vcc_lo
	s_delay_alu instid0(VALU_DEP_2) | instskip(SKIP_1) | instid1(VALU_DEP_3)
	v_mul_hi_u32 v9, v6, v4
	v_mad_u64_u32 v[2:3], null, v7, v4, 0
	v_mad_u64_u32 v[0:1], null, v6, v8, 0
	;; [unrolled: 1-line block ×3, first 2 shown]
	s_delay_alu instid0(VALU_DEP_2) | instskip(NEXT) | instid1(VALU_DEP_3)
	v_add_co_u32 v0, vcc_lo, v9, v0
	v_add_co_ci_u32_e32 v1, vcc_lo, 0, v1, vcc_lo
	s_delay_alu instid0(VALU_DEP_2) | instskip(NEXT) | instid1(VALU_DEP_2)
	v_add_co_u32 v0, vcc_lo, v0, v2
	v_add_co_ci_u32_e32 v0, vcc_lo, v1, v3, vcc_lo
	v_add_co_ci_u32_e32 v1, vcc_lo, 0, v5, vcc_lo
	s_delay_alu instid0(VALU_DEP_2) | instskip(NEXT) | instid1(VALU_DEP_2)
	v_add_co_u32 v2, vcc_lo, v0, v4
	v_add_co_ci_u32_e32 v3, vcc_lo, 0, v1, vcc_lo
	s_delay_alu instid0(VALU_DEP_2) | instskip(SKIP_1) | instid1(VALU_DEP_3)
	v_mul_lo_u32 v4, s9, v2
	v_mad_u64_u32 v[0:1], null, s8, v2, 0
	v_mul_lo_u32 v5, s8, v3
	s_delay_alu instid0(VALU_DEP_2) | instskip(NEXT) | instid1(VALU_DEP_2)
	v_sub_co_u32 v0, vcc_lo, v6, v0
	v_add3_u32 v1, v1, v5, v4
	s_delay_alu instid0(VALU_DEP_1) | instskip(NEXT) | instid1(VALU_DEP_1)
	v_sub_nc_u32_e32 v4, v7, v1
	v_subrev_co_ci_u32_e64 v4, s0, s9, v4, vcc_lo
	v_add_co_u32 v5, s0, v2, 2
	s_delay_alu instid0(VALU_DEP_1) | instskip(SKIP_3) | instid1(VALU_DEP_3)
	v_add_co_ci_u32_e64 v8, s0, 0, v3, s0
	v_sub_co_u32 v9, s0, v0, s8
	v_sub_co_ci_u32_e32 v1, vcc_lo, v7, v1, vcc_lo
	v_subrev_co_ci_u32_e64 v4, s0, 0, v4, s0
	v_cmp_le_u32_e32 vcc_lo, s8, v9
	s_delay_alu instid0(VALU_DEP_3) | instskip(SKIP_1) | instid1(VALU_DEP_4)
	v_cmp_eq_u32_e64 s0, s9, v1
	v_cndmask_b32_e64 v9, 0, -1, vcc_lo
	v_cmp_le_u32_e32 vcc_lo, s9, v4
	v_cndmask_b32_e64 v10, 0, -1, vcc_lo
	v_cmp_le_u32_e32 vcc_lo, s8, v0
	;; [unrolled: 2-line block ×3, first 2 shown]
	v_cndmask_b32_e64 v11, 0, -1, vcc_lo
	v_cmp_eq_u32_e32 vcc_lo, s9, v4
	s_delay_alu instid0(VALU_DEP_2) | instskip(SKIP_3) | instid1(VALU_DEP_3)
	v_cndmask_b32_e64 v0, v11, v0, s0
	v_cndmask_b32_e32 v4, v10, v9, vcc_lo
	v_add_co_u32 v9, vcc_lo, v2, 1
	v_add_co_ci_u32_e32 v10, vcc_lo, 0, v3, vcc_lo
	v_cmp_ne_u32_e32 vcc_lo, 0, v4
	s_delay_alu instid0(VALU_DEP_2) | instskip(SKIP_1) | instid1(VALU_DEP_2)
	v_dual_cndmask_b32 v1, v10, v8 :: v_dual_cndmask_b32 v4, v9, v5
	v_cmp_ne_u32_e32 vcc_lo, 0, v0
	v_dual_cndmask_b32 v1, v3, v1 :: v_dual_cndmask_b32 v0, v2, v4
.LBB102_3:
	s_and_not1_saveexec_b32 s0, s1
	s_cbranch_execz .LBB102_5
; %bb.4:
	v_cvt_f32_u32_e32 v0, s8
	s_sub_i32 s1, 0, s8
	s_delay_alu instid0(VALU_DEP_1) | instskip(SKIP_2) | instid1(VALU_DEP_1)
	v_rcp_iflag_f32_e32 v0, v0
	s_waitcnt_depctr 0xfff
	v_mul_f32_e32 v0, 0x4f7ffffe, v0
	v_cvt_u32_f32_e32 v0, v0
	s_delay_alu instid0(VALU_DEP_1) | instskip(NEXT) | instid1(VALU_DEP_1)
	v_mul_lo_u32 v1, s1, v0
	v_mul_hi_u32 v1, v0, v1
	s_delay_alu instid0(VALU_DEP_1) | instskip(NEXT) | instid1(VALU_DEP_1)
	v_add_nc_u32_e32 v0, v0, v1
	v_mul_hi_u32 v0, v6, v0
	s_delay_alu instid0(VALU_DEP_1) | instskip(SKIP_1) | instid1(VALU_DEP_2)
	v_mul_lo_u32 v1, v0, s8
	v_add_nc_u32_e32 v2, 1, v0
	v_sub_nc_u32_e32 v1, v6, v1
	s_delay_alu instid0(VALU_DEP_1) | instskip(SKIP_1) | instid1(VALU_DEP_2)
	v_subrev_nc_u32_e32 v3, s8, v1
	v_cmp_le_u32_e32 vcc_lo, s8, v1
	v_dual_cndmask_b32 v1, v1, v3 :: v_dual_cndmask_b32 v0, v0, v2
	s_delay_alu instid0(VALU_DEP_1) | instskip(NEXT) | instid1(VALU_DEP_2)
	v_cmp_le_u32_e32 vcc_lo, s8, v1
	v_dual_mov_b32 v1, 0 :: v_dual_add_nc_u32 v2, 1, v0
	s_delay_alu instid0(VALU_DEP_1)
	v_cndmask_b32_e32 v0, v0, v2, vcc_lo
.LBB102_5:
	s_or_b32 exec_lo, exec_lo, s0
	s_delay_alu instid0(VALU_DEP_1) | instskip(NEXT) | instid1(VALU_DEP_2)
	v_mul_lo_u32 v4, v1, s8
	v_mul_lo_u32 v5, v0, s9
	v_mad_u64_u32 v[2:3], null, v0, s8, 0
	s_delay_alu instid0(VALU_DEP_1) | instskip(NEXT) | instid1(VALU_DEP_2)
	v_add3_u32 v3, v3, v5, v4
	v_sub_co_u32 v4, vcc_lo, v6, v2
	v_mov_b32_e32 v2, 0
	s_delay_alu instid0(VALU_DEP_3) | instskip(NEXT) | instid1(VALU_DEP_1)
	v_sub_co_ci_u32_e32 v5, vcc_lo, v7, v3, vcc_lo
	v_or_b32_e32 v3, s11, v5
	s_delay_alu instid0(VALU_DEP_1) | instskip(SKIP_1) | instid1(SALU_CYCLE_1)
	v_cmp_ne_u64_e32 vcc_lo, 0, v[2:3]
                                        ; implicit-def: $vgpr2_vgpr3
	s_and_saveexec_b32 s0, vcc_lo
	s_xor_b32 s1, exec_lo, s0
	s_cbranch_execz .LBB102_7
; %bb.6:
	v_cvt_f32_u32_e32 v2, s10
	v_cvt_f32_u32_e32 v3, s11
	s_sub_u32 s0, 0, s10
	s_subb_u32 s2, 0, s11
	s_delay_alu instid0(VALU_DEP_1) | instskip(NEXT) | instid1(VALU_DEP_1)
	v_fmamk_f32 v2, v3, 0x4f800000, v2
	v_rcp_f32_e32 v2, v2
	s_waitcnt_depctr 0xfff
	v_mul_f32_e32 v2, 0x5f7ffffc, v2
	s_delay_alu instid0(VALU_DEP_1) | instskip(NEXT) | instid1(VALU_DEP_1)
	v_mul_f32_e32 v3, 0x2f800000, v2
	v_trunc_f32_e32 v3, v3
	s_delay_alu instid0(VALU_DEP_1) | instskip(SKIP_1) | instid1(VALU_DEP_2)
	v_fmamk_f32 v2, v3, 0xcf800000, v2
	v_cvt_u32_f32_e32 v3, v3
	v_cvt_u32_f32_e32 v2, v2
	s_delay_alu instid0(VALU_DEP_2) | instskip(NEXT) | instid1(VALU_DEP_2)
	v_mul_lo_u32 v8, s0, v3
	v_mul_hi_u32 v9, s0, v2
	v_mul_lo_u32 v10, s2, v2
	s_delay_alu instid0(VALU_DEP_2) | instskip(SKIP_1) | instid1(VALU_DEP_2)
	v_add_nc_u32_e32 v8, v9, v8
	v_mul_lo_u32 v9, s0, v2
	v_add_nc_u32_e32 v8, v8, v10
	s_delay_alu instid0(VALU_DEP_2) | instskip(NEXT) | instid1(VALU_DEP_2)
	v_mul_hi_u32 v10, v2, v9
	v_mul_lo_u32 v11, v2, v8
	v_mul_hi_u32 v12, v2, v8
	v_mul_hi_u32 v13, v3, v9
	v_mul_lo_u32 v9, v3, v9
	v_mul_hi_u32 v14, v3, v8
	v_mul_lo_u32 v8, v3, v8
	v_add_co_u32 v10, vcc_lo, v10, v11
	v_add_co_ci_u32_e32 v11, vcc_lo, 0, v12, vcc_lo
	s_delay_alu instid0(VALU_DEP_2) | instskip(NEXT) | instid1(VALU_DEP_2)
	v_add_co_u32 v9, vcc_lo, v10, v9
	v_add_co_ci_u32_e32 v9, vcc_lo, v11, v13, vcc_lo
	v_add_co_ci_u32_e32 v10, vcc_lo, 0, v14, vcc_lo
	s_delay_alu instid0(VALU_DEP_2) | instskip(NEXT) | instid1(VALU_DEP_2)
	v_add_co_u32 v8, vcc_lo, v9, v8
	v_add_co_ci_u32_e32 v9, vcc_lo, 0, v10, vcc_lo
	s_delay_alu instid0(VALU_DEP_2) | instskip(NEXT) | instid1(VALU_DEP_2)
	v_add_co_u32 v2, vcc_lo, v2, v8
	v_add_co_ci_u32_e32 v3, vcc_lo, v3, v9, vcc_lo
	s_delay_alu instid0(VALU_DEP_2) | instskip(SKIP_1) | instid1(VALU_DEP_3)
	v_mul_hi_u32 v8, s0, v2
	v_mul_lo_u32 v10, s2, v2
	v_mul_lo_u32 v9, s0, v3
	s_delay_alu instid0(VALU_DEP_1) | instskip(SKIP_1) | instid1(VALU_DEP_2)
	v_add_nc_u32_e32 v8, v8, v9
	v_mul_lo_u32 v9, s0, v2
	v_add_nc_u32_e32 v8, v8, v10
	s_delay_alu instid0(VALU_DEP_2) | instskip(NEXT) | instid1(VALU_DEP_2)
	v_mul_hi_u32 v10, v2, v9
	v_mul_lo_u32 v11, v2, v8
	v_mul_hi_u32 v12, v2, v8
	v_mul_hi_u32 v13, v3, v9
	v_mul_lo_u32 v9, v3, v9
	v_mul_hi_u32 v14, v3, v8
	v_mul_lo_u32 v8, v3, v8
	v_add_co_u32 v10, vcc_lo, v10, v11
	v_add_co_ci_u32_e32 v11, vcc_lo, 0, v12, vcc_lo
	s_delay_alu instid0(VALU_DEP_2) | instskip(NEXT) | instid1(VALU_DEP_2)
	v_add_co_u32 v9, vcc_lo, v10, v9
	v_add_co_ci_u32_e32 v9, vcc_lo, v11, v13, vcc_lo
	v_add_co_ci_u32_e32 v10, vcc_lo, 0, v14, vcc_lo
	s_delay_alu instid0(VALU_DEP_2) | instskip(NEXT) | instid1(VALU_DEP_2)
	v_add_co_u32 v8, vcc_lo, v9, v8
	v_add_co_ci_u32_e32 v9, vcc_lo, 0, v10, vcc_lo
	s_delay_alu instid0(VALU_DEP_2) | instskip(NEXT) | instid1(VALU_DEP_2)
	v_add_co_u32 v10, vcc_lo, v2, v8
	v_add_co_ci_u32_e32 v12, vcc_lo, v3, v9, vcc_lo
	s_delay_alu instid0(VALU_DEP_2) | instskip(SKIP_1) | instid1(VALU_DEP_3)
	v_mul_hi_u32 v13, v4, v10
	v_mad_u64_u32 v[8:9], null, v5, v10, 0
	v_mad_u64_u32 v[2:3], null, v4, v12, 0
	v_mad_u64_u32 v[10:11], null, v5, v12, 0
	s_delay_alu instid0(VALU_DEP_2) | instskip(NEXT) | instid1(VALU_DEP_3)
	v_add_co_u32 v2, vcc_lo, v13, v2
	v_add_co_ci_u32_e32 v3, vcc_lo, 0, v3, vcc_lo
	s_delay_alu instid0(VALU_DEP_2) | instskip(NEXT) | instid1(VALU_DEP_2)
	v_add_co_u32 v2, vcc_lo, v2, v8
	v_add_co_ci_u32_e32 v2, vcc_lo, v3, v9, vcc_lo
	v_add_co_ci_u32_e32 v3, vcc_lo, 0, v11, vcc_lo
	s_delay_alu instid0(VALU_DEP_2) | instskip(NEXT) | instid1(VALU_DEP_2)
	v_add_co_u32 v8, vcc_lo, v2, v10
	v_add_co_ci_u32_e32 v9, vcc_lo, 0, v3, vcc_lo
	s_delay_alu instid0(VALU_DEP_2) | instskip(SKIP_1) | instid1(VALU_DEP_3)
	v_mul_lo_u32 v10, s11, v8
	v_mad_u64_u32 v[2:3], null, s10, v8, 0
	v_mul_lo_u32 v11, s10, v9
	s_delay_alu instid0(VALU_DEP_2) | instskip(NEXT) | instid1(VALU_DEP_2)
	v_sub_co_u32 v2, vcc_lo, v4, v2
	v_add3_u32 v3, v3, v11, v10
	s_delay_alu instid0(VALU_DEP_1) | instskip(NEXT) | instid1(VALU_DEP_1)
	v_sub_nc_u32_e32 v10, v5, v3
	v_subrev_co_ci_u32_e64 v10, s0, s11, v10, vcc_lo
	v_add_co_u32 v11, s0, v8, 2
	s_delay_alu instid0(VALU_DEP_1) | instskip(SKIP_3) | instid1(VALU_DEP_3)
	v_add_co_ci_u32_e64 v12, s0, 0, v9, s0
	v_sub_co_u32 v13, s0, v2, s10
	v_sub_co_ci_u32_e32 v3, vcc_lo, v5, v3, vcc_lo
	v_subrev_co_ci_u32_e64 v10, s0, 0, v10, s0
	v_cmp_le_u32_e32 vcc_lo, s10, v13
	s_delay_alu instid0(VALU_DEP_3) | instskip(SKIP_1) | instid1(VALU_DEP_4)
	v_cmp_eq_u32_e64 s0, s11, v3
	v_cndmask_b32_e64 v13, 0, -1, vcc_lo
	v_cmp_le_u32_e32 vcc_lo, s11, v10
	v_cndmask_b32_e64 v14, 0, -1, vcc_lo
	v_cmp_le_u32_e32 vcc_lo, s10, v2
	;; [unrolled: 2-line block ×3, first 2 shown]
	v_cndmask_b32_e64 v15, 0, -1, vcc_lo
	v_cmp_eq_u32_e32 vcc_lo, s11, v10
	s_delay_alu instid0(VALU_DEP_2) | instskip(SKIP_3) | instid1(VALU_DEP_3)
	v_cndmask_b32_e64 v2, v15, v2, s0
	v_cndmask_b32_e32 v10, v14, v13, vcc_lo
	v_add_co_u32 v13, vcc_lo, v8, 1
	v_add_co_ci_u32_e32 v14, vcc_lo, 0, v9, vcc_lo
	v_cmp_ne_u32_e32 vcc_lo, 0, v10
	s_delay_alu instid0(VALU_DEP_2) | instskip(SKIP_1) | instid1(VALU_DEP_2)
	v_dual_cndmask_b32 v3, v14, v12 :: v_dual_cndmask_b32 v10, v13, v11
	v_cmp_ne_u32_e32 vcc_lo, 0, v2
	v_dual_cndmask_b32 v3, v9, v3 :: v_dual_cndmask_b32 v2, v8, v10
.LBB102_7:
	s_and_not1_saveexec_b32 s0, s1
	s_cbranch_execz .LBB102_9
; %bb.8:
	v_cvt_f32_u32_e32 v2, s10
	s_sub_i32 s1, 0, s10
	s_delay_alu instid0(VALU_DEP_1) | instskip(SKIP_2) | instid1(VALU_DEP_1)
	v_rcp_iflag_f32_e32 v2, v2
	s_waitcnt_depctr 0xfff
	v_mul_f32_e32 v2, 0x4f7ffffe, v2
	v_cvt_u32_f32_e32 v2, v2
	s_delay_alu instid0(VALU_DEP_1) | instskip(NEXT) | instid1(VALU_DEP_1)
	v_mul_lo_u32 v3, s1, v2
	v_mul_hi_u32 v3, v2, v3
	s_delay_alu instid0(VALU_DEP_1) | instskip(NEXT) | instid1(VALU_DEP_1)
	v_add_nc_u32_e32 v2, v2, v3
	v_mul_hi_u32 v2, v4, v2
	s_delay_alu instid0(VALU_DEP_1) | instskip(SKIP_1) | instid1(VALU_DEP_2)
	v_mul_lo_u32 v3, v2, s10
	v_add_nc_u32_e32 v8, 1, v2
	v_sub_nc_u32_e32 v3, v4, v3
	s_delay_alu instid0(VALU_DEP_1) | instskip(SKIP_1) | instid1(VALU_DEP_2)
	v_subrev_nc_u32_e32 v9, s10, v3
	v_cmp_le_u32_e32 vcc_lo, s10, v3
	v_dual_cndmask_b32 v3, v3, v9 :: v_dual_cndmask_b32 v2, v2, v8
	s_delay_alu instid0(VALU_DEP_1) | instskip(NEXT) | instid1(VALU_DEP_2)
	v_cmp_le_u32_e32 vcc_lo, s10, v3
	v_dual_mov_b32 v3, 0 :: v_dual_add_nc_u32 v8, 1, v2
	s_delay_alu instid0(VALU_DEP_1)
	v_cndmask_b32_e32 v2, v2, v8, vcc_lo
.LBB102_9:
	s_or_b32 exec_lo, exec_lo, s0
	s_delay_alu instid0(VALU_DEP_1) | instskip(NEXT) | instid1(VALU_DEP_2)
	v_mul_lo_u32 v12, v3, s10
	v_mul_lo_u32 v13, v2, s11
	v_mad_u64_u32 v[8:9], null, v2, s10, 0
	v_mad_u64_u32 v[10:11], null, v0, s6, v[2:3]
	v_mul_lo_u32 v0, v0, s7
	v_mul_lo_u32 v1, v1, s6
	s_delay_alu instid0(VALU_DEP_4) | instskip(NEXT) | instid1(VALU_DEP_2)
	v_add3_u32 v2, v9, v13, v12
	v_add3_u32 v3, v1, v11, v0
	v_sub_co_u32 v0, vcc_lo, v4, v8
	s_delay_alu instid0(VALU_DEP_3) | instskip(SKIP_1) | instid1(VALU_DEP_4)
	v_sub_co_ci_u32_e32 v1, vcc_lo, v5, v2, vcc_lo
	v_mul_lo_u32 v4, v10, s5
	v_mul_lo_u32 v5, v3, s4
                                        ; implicit-def: $vgpr8
	s_delay_alu instid0(VALU_DEP_3) | instskip(NEXT) | instid1(VALU_DEP_1)
	v_mad_u64_u32 v[2:3], null, v10, s4, v[0:1]
	v_add3_u32 v3, v5, v3, v4
	s_delay_alu instid0(VALU_DEP_2) | instskip(NEXT) | instid1(VALU_DEP_2)
	v_cvt_f64_u32_e32 v[4:5], v2
	v_cvt_f64_u32_e32 v[0:1], v3
	v_cmp_lt_u64_e32 vcc_lo, 0x3fffffff, v[2:3]
                                        ; implicit-def: $vgpr2_vgpr3
	s_delay_alu instid0(VALU_DEP_2) | instskip(NEXT) | instid1(VALU_DEP_1)
	v_ldexp_f64 v[0:1], v[0:1], 32
	v_add_f64 v[0:1], v[0:1], v[4:5]
                                        ; implicit-def: $vgpr4_vgpr5
	s_and_saveexec_b32 s0, vcc_lo
	s_delay_alu instid0(SALU_CYCLE_1)
	s_xor_b32 s1, exec_lo, s0
	s_cbranch_execz .LBB102_11
; %bb.10:
	s_delay_alu instid0(VALU_DEP_1)
	v_trig_preop_f64 v[2:3], v[0:1], 0
	v_trig_preop_f64 v[4:5], v[0:1], 1
	;; [unrolled: 1-line block ×3, first 2 shown]
	v_mov_b32_e32 v24, 0
	s_mov_b32 s2, 0x54442d18
	s_mov_b32 s3, 0x3ff921fb
	;; [unrolled: 1-line block ×4, first 2 shown]
	s_delay_alu instid0(VALU_DEP_4) | instskip(NEXT) | instid1(VALU_DEP_4)
	v_mul_f64 v[8:9], v[2:3], v[0:1]
	v_mul_f64 v[10:11], v[4:5], v[0:1]
	s_delay_alu instid0(VALU_DEP_4) | instskip(NEXT) | instid1(VALU_DEP_3)
	v_mul_f64 v[22:23], v[16:17], v[0:1]
	v_fma_f64 v[2:3], v[2:3], v[0:1], -v[8:9]
	s_delay_alu instid0(VALU_DEP_3) | instskip(NEXT) | instid1(VALU_DEP_3)
	v_fma_f64 v[4:5], v[4:5], v[0:1], -v[10:11]
	v_fma_f64 v[16:17], v[16:17], v[0:1], -v[22:23]
	s_delay_alu instid0(VALU_DEP_3) | instskip(NEXT) | instid1(VALU_DEP_1)
	v_add_f64 v[12:13], v[10:11], v[2:3]
	v_add_f64 v[14:15], v[12:13], -v[10:11]
	v_add_f64 v[20:21], v[8:9], v[12:13]
	s_delay_alu instid0(VALU_DEP_2) | instskip(SKIP_1) | instid1(VALU_DEP_3)
	v_add_f64 v[18:19], v[12:13], -v[14:15]
	v_add_f64 v[2:3], v[2:3], -v[14:15]
	v_ldexp_f64 v[14:15], v[20:21], -2
	v_add_f64 v[8:9], v[20:21], -v[8:9]
	s_delay_alu instid0(VALU_DEP_4) | instskip(SKIP_1) | instid1(VALU_DEP_4)
	v_add_f64 v[10:11], v[10:11], -v[18:19]
	v_add_f64 v[18:19], v[22:23], v[4:5]
	v_cmp_neq_f64_e64 vcc_lo, 0x7ff00000, |v[14:15]|
	s_delay_alu instid0(VALU_DEP_4) | instskip(NEXT) | instid1(VALU_DEP_4)
	v_add_f64 v[8:9], v[12:13], -v[8:9]
	v_add_f64 v[2:3], v[2:3], v[10:11]
	v_fract_f64_e32 v[10:11], v[14:15]
	s_delay_alu instid0(VALU_DEP_2) | instskip(NEXT) | instid1(VALU_DEP_2)
	v_add_f64 v[12:13], v[18:19], v[2:3]
	v_dual_cndmask_b32 v11, 0, v11 :: v_dual_cndmask_b32 v10, 0, v10
	s_delay_alu instid0(VALU_DEP_1) | instskip(NEXT) | instid1(VALU_DEP_3)
	v_ldexp_f64 v[10:11], v[10:11], 2
	v_add_f64 v[14:15], v[8:9], v[12:13]
	s_delay_alu instid0(VALU_DEP_1) | instskip(SKIP_1) | instid1(VALU_DEP_2)
	v_add_f64 v[20:21], v[14:15], v[10:11]
	v_add_f64 v[8:9], v[14:15], -v[8:9]
	v_cmp_gt_f64_e32 vcc_lo, 0, v[20:21]
	v_add_f64 v[20:21], v[18:19], -v[22:23]
	s_delay_alu instid0(VALU_DEP_3) | instskip(SKIP_1) | instid1(VALU_DEP_3)
	v_add_f64 v[8:9], v[12:13], -v[8:9]
	v_cndmask_b32_e64 v25, 0, 0x40100000, vcc_lo
	v_add_f64 v[29:30], v[18:19], -v[20:21]
	v_add_f64 v[4:5], v[4:5], -v[20:21]
	s_delay_alu instid0(VALU_DEP_3) | instskip(SKIP_1) | instid1(VALU_DEP_4)
	v_add_f64 v[10:11], v[10:11], v[24:25]
	v_add_f64 v[25:26], v[12:13], -v[18:19]
	v_add_f64 v[20:21], v[22:23], -v[29:30]
	s_delay_alu instid0(VALU_DEP_3) | instskip(NEXT) | instid1(VALU_DEP_3)
	v_add_f64 v[27:28], v[14:15], v[10:11]
	v_add_f64 v[31:32], v[12:13], -v[25:26]
	v_add_f64 v[2:3], v[2:3], -v[25:26]
	s_delay_alu instid0(VALU_DEP_4) | instskip(NEXT) | instid1(VALU_DEP_4)
	v_add_f64 v[4:5], v[4:5], v[20:21]
	v_cvt_i32_f64_e32 v27, v[27:28]
	s_delay_alu instid0(VALU_DEP_4) | instskip(NEXT) | instid1(VALU_DEP_2)
	v_add_f64 v[18:19], v[18:19], -v[31:32]
	v_cvt_f64_i32_e32 v[25:26], v27
	s_delay_alu instid0(VALU_DEP_2) | instskip(NEXT) | instid1(VALU_DEP_2)
	v_add_f64 v[2:3], v[2:3], v[18:19]
	v_add_f64 v[10:11], v[10:11], -v[25:26]
	s_delay_alu instid0(VALU_DEP_2) | instskip(NEXT) | instid1(VALU_DEP_2)
	v_add_f64 v[2:3], v[4:5], v[2:3]
	v_add_f64 v[4:5], v[14:15], v[10:11]
	s_delay_alu instid0(VALU_DEP_2) | instskip(NEXT) | instid1(VALU_DEP_2)
	v_add_f64 v[2:3], v[16:17], v[2:3]
	v_add_f64 v[10:11], v[4:5], -v[10:11]
	v_cmp_le_f64_e32 vcc_lo, 0.5, v[4:5]
	s_delay_alu instid0(VALU_DEP_3) | instskip(NEXT) | instid1(VALU_DEP_3)
	v_add_f64 v[2:3], v[8:9], v[2:3]
	v_add_f64 v[9:10], v[14:15], -v[10:11]
	v_cndmask_b32_e64 v25, 0, 0x3ff00000, vcc_lo
	v_add_co_ci_u32_e64 v8, s0, 0, v27, vcc_lo
	s_delay_alu instid0(VALU_DEP_2) | instskip(NEXT) | instid1(VALU_DEP_4)
	v_add_f64 v[4:5], v[4:5], -v[24:25]
	v_add_f64 v[2:3], v[2:3], v[9:10]
	s_delay_alu instid0(VALU_DEP_1) | instskip(NEXT) | instid1(VALU_DEP_1)
	v_add_f64 v[9:10], v[4:5], v[2:3]
	v_mul_f64 v[11:12], v[9:10], s[2:3]
	v_add_f64 v[4:5], v[9:10], -v[4:5]
	s_delay_alu instid0(VALU_DEP_2) | instskip(NEXT) | instid1(VALU_DEP_2)
	v_fma_f64 v[13:14], v[9:10], s[2:3], -v[11:12]
	v_add_f64 v[2:3], v[2:3], -v[4:5]
	s_delay_alu instid0(VALU_DEP_2) | instskip(NEXT) | instid1(VALU_DEP_1)
	v_fma_f64 v[4:5], v[9:10], s[4:5], v[13:14]
	v_fma_f64 v[4:5], v[2:3], s[2:3], v[4:5]
	s_delay_alu instid0(VALU_DEP_1) | instskip(NEXT) | instid1(VALU_DEP_1)
	v_add_f64 v[2:3], v[11:12], v[4:5]
	v_add_f64 v[9:10], v[2:3], -v[11:12]
	s_delay_alu instid0(VALU_DEP_1)
	v_add_f64 v[4:5], v[4:5], -v[9:10]
.LBB102_11:
	s_and_not1_saveexec_b32 s0, s1
	s_cbranch_execz .LBB102_13
; %bb.12:
	s_mov_b32 s2, 0x6dc9c883
	s_mov_b32 s3, 0x3fe45f30
	;; [unrolled: 1-line block ×3, first 2 shown]
	s_delay_alu instid0(VALU_DEP_1) | instskip(SKIP_3) | instid1(VALU_DEP_1)
	v_mul_f64 v[2:3], v[0:1], s[2:3]
	s_mov_b32 s2, 0x54442d18
	s_mov_b32 s3, 0xbff921fb
	;; [unrolled: 1-line block ×3, first 2 shown]
	v_rndne_f64_e32 v[8:9], v[2:3]
	s_delay_alu instid0(VALU_DEP_1) | instskip(SKIP_3) | instid1(VALU_DEP_2)
	v_fma_f64 v[2:3], v[8:9], s[2:3], v[0:1]
	v_mul_f64 v[4:5], v[8:9], s[4:5]
	s_mov_b32 s2, 0x252049c0
	s_mov_b32 s3, 0xb97b839a
	v_fma_f64 v[12:13], v[8:9], s[4:5], v[2:3]
	s_delay_alu instid0(VALU_DEP_2) | instskip(SKIP_1) | instid1(VALU_DEP_1)
	v_add_f64 v[10:11], v[2:3], v[4:5]
	s_mov_b32 s5, 0x3c91a626
	v_add_f64 v[2:3], v[2:3], -v[10:11]
	s_delay_alu instid0(VALU_DEP_3) | instskip(NEXT) | instid1(VALU_DEP_2)
	v_add_f64 v[10:11], v[10:11], -v[12:13]
	v_add_f64 v[2:3], v[2:3], v[4:5]
	v_fma_f64 v[4:5], v[8:9], s[4:5], v[4:5]
	s_delay_alu instid0(VALU_DEP_2) | instskip(NEXT) | instid1(VALU_DEP_1)
	v_add_f64 v[2:3], v[10:11], v[2:3]
	v_add_f64 v[2:3], v[2:3], -v[4:5]
	s_delay_alu instid0(VALU_DEP_1) | instskip(SKIP_1) | instid1(VALU_DEP_2)
	v_fma_f64 v[4:5], v[8:9], s[2:3], v[2:3]
	v_cvt_i32_f64_e32 v8, v[8:9]
	v_add_f64 v[2:3], v[12:13], v[4:5]
	s_delay_alu instid0(VALU_DEP_1) | instskip(NEXT) | instid1(VALU_DEP_1)
	v_add_f64 v[10:11], v[2:3], -v[12:13]
	v_add_f64 v[4:5], v[4:5], -v[10:11]
.LBB102_13:
	s_or_b32 exec_lo, exec_lo, s0
	v_mul_f64 v[9:10], v[2:3], v[2:3]
	s_mov_b32 s0, 0xb42fdfa7
	s_mov_b32 s2, 0xf9a43bb8
	;; [unrolled: 1-line block ×6, first 2 shown]
	s_delay_alu instid0(VALU_DEP_2) | instskip(SKIP_1) | instid1(VALU_DEP_1)
	v_mul_f64 v[19:20], v[4:5], 0.5
	v_and_b32_e32 v0, 1, v8
	v_cmp_eq_u32_e32 vcc_lo, 0, v0
	s_delay_alu instid0(VALU_DEP_4)
	v_fma_f64 v[11:12], v[9:10], s[2:3], s[0:1]
	s_mov_b32 s0, 0x9037ab78
	s_mov_b32 s2, 0x46cc5e42
	;; [unrolled: 1-line block ×4, first 2 shown]
	v_mul_f64 v[15:16], v[9:10], 0.5
	v_fma_f64 v[13:14], v[9:10], s[2:3], s[0:1]
	s_mov_b32 s0, 0xa17f65f6
	s_mov_b32 s2, 0x19e83e5c
	;; [unrolled: 1-line block ×4, first 2 shown]
	v_mul_f64 v[21:22], v[2:3], -v[9:10]
	s_delay_alu instid0(VALU_DEP_4) | instskip(NEXT) | instid1(VALU_DEP_4)
	v_fma_f64 v[11:12], v[9:10], v[11:12], s[4:5]
	v_add_f64 v[17:18], -v[15:16], 1.0
	s_delay_alu instid0(VALU_DEP_4) | instskip(SKIP_2) | instid1(VALU_DEP_3)
	v_fma_f64 v[13:14], v[9:10], v[13:14], s[0:1]
	s_mov_b32 s0, 0x19f4ec90
	s_mov_b32 s1, 0x3efa01a0
	v_fma_f64 v[11:12], v[9:10], v[11:12], s[2:3]
	s_mov_b32 s2, 0x11110bb3
	s_mov_b32 s3, 0x3f811111
	s_delay_alu instid0(VALU_DEP_3) | instskip(NEXT) | instid1(VALU_DEP_3)
	v_add_f64 v[23:24], -v[17:18], 1.0
	v_fma_f64 v[13:14], v[9:10], v[13:14], s[0:1]
	s_mov_b32 s0, 0x16c16967
	s_mov_b32 s1, 0xbf56c16c
	s_delay_alu instid0(VALU_DEP_3) | instskip(NEXT) | instid1(VALU_DEP_3)
	v_fma_f64 v[11:12], v[9:10], v[11:12], s[2:3]
	v_add_f64 v[15:16], v[23:24], -v[15:16]
	s_delay_alu instid0(VALU_DEP_3) | instskip(SKIP_2) | instid1(VALU_DEP_3)
	v_fma_f64 v[13:14], v[9:10], v[13:14], s[0:1]
	s_mov_b32 s1, 0x3fa55555
	s_mov_b32 s0, 0x55555555
	v_fma_f64 v[11:12], v[21:22], v[11:12], v[19:20]
	v_mul_f64 v[19:20], v[9:10], v[9:10]
	s_delay_alu instid0(VALU_DEP_4) | instskip(NEXT) | instid1(VALU_DEP_4)
	v_fma_f64 v[15:16], v[2:3], -v[4:5], v[15:16]
	v_fma_f64 v[13:14], v[9:10], v[13:14], s[0:1]
	s_mov_b32 s1, 0xbfc55555
	s_delay_alu instid0(VALU_DEP_4) | instskip(NEXT) | instid1(VALU_DEP_2)
	v_fma_f64 v[4:5], v[9:10], v[11:12], -v[4:5]
	v_fma_f64 v[9:10], v[19:20], v[13:14], v[15:16]
	s_delay_alu instid0(VALU_DEP_2) | instskip(NEXT) | instid1(VALU_DEP_2)
	v_fma_f64 v[4:5], v[21:22], s[0:1], v[4:5]
	v_add_f64 v[9:10], v[17:18], v[9:10]
	s_delay_alu instid0(VALU_DEP_2) | instskip(SKIP_1) | instid1(VALU_DEP_1)
	v_add_f64 v[2:3], v[2:3], -v[4:5]
	v_lshlrev_b32_e32 v4, 30, v8
	v_xor_b32_e32 v1, v4, v1
	s_delay_alu instid0(VALU_DEP_1) | instskip(NEXT) | instid1(VALU_DEP_4)
	v_dual_cndmask_b32 v0, v9, v2 :: v_dual_and_b32 v1, 0x80000000, v1
	v_cndmask_b32_e32 v2, v10, v3, vcc_lo
	s_delay_alu instid0(VALU_DEP_1) | instskip(NEXT) | instid1(VALU_DEP_1)
	v_xor_b32_e32 v1, v2, v1
	v_cvt_i32_f64_e32 v2, v[0:1]
	v_add_co_u32 v0, vcc_lo, s16, v6
	v_add_co_ci_u32_e32 v1, vcc_lo, s17, v7, vcc_lo
	global_store_b8 v[0:1], v2, off
.LBB102_14:
	s_nop 0
	s_sendmsg sendmsg(MSG_DEALLOC_VGPRS)
	s_endpgm
	.section	.rodata,"a",@progbits
	.p2align	6, 0x0
	.amdhsa_kernel _Z11fill_kernelIaZ21hipblaslt_init_deviceIaEv8ABC_dims24hipblaslt_initializationbPT_mmmmmEUlmE2_EvS4_mmT0_
		.amdhsa_group_segment_fixed_size 0
		.amdhsa_private_segment_fixed_size 0
		.amdhsa_kernarg_size 312
		.amdhsa_user_sgpr_count 15
		.amdhsa_user_sgpr_dispatch_ptr 0
		.amdhsa_user_sgpr_queue_ptr 0
		.amdhsa_user_sgpr_kernarg_segment_ptr 1
		.amdhsa_user_sgpr_dispatch_id 0
		.amdhsa_user_sgpr_private_segment_size 0
		.amdhsa_wavefront_size32 1
		.amdhsa_uses_dynamic_stack 0
		.amdhsa_enable_private_segment 0
		.amdhsa_system_sgpr_workgroup_id_x 1
		.amdhsa_system_sgpr_workgroup_id_y 0
		.amdhsa_system_sgpr_workgroup_id_z 0
		.amdhsa_system_sgpr_workgroup_info 0
		.amdhsa_system_vgpr_workitem_id 0
		.amdhsa_next_free_vgpr 33
		.amdhsa_next_free_sgpr 20
		.amdhsa_reserve_vcc 1
		.amdhsa_float_round_mode_32 0
		.amdhsa_float_round_mode_16_64 0
		.amdhsa_float_denorm_mode_32 3
		.amdhsa_float_denorm_mode_16_64 3
		.amdhsa_dx10_clamp 1
		.amdhsa_ieee_mode 1
		.amdhsa_fp16_overflow 0
		.amdhsa_workgroup_processor_mode 1
		.amdhsa_memory_ordered 1
		.amdhsa_forward_progress 0
		.amdhsa_shared_vgpr_count 0
		.amdhsa_exception_fp_ieee_invalid_op 0
		.amdhsa_exception_fp_denorm_src 0
		.amdhsa_exception_fp_ieee_div_zero 0
		.amdhsa_exception_fp_ieee_overflow 0
		.amdhsa_exception_fp_ieee_underflow 0
		.amdhsa_exception_fp_ieee_inexact 0
		.amdhsa_exception_int_div_zero 0
	.end_amdhsa_kernel
	.section	.text._Z11fill_kernelIaZ21hipblaslt_init_deviceIaEv8ABC_dims24hipblaslt_initializationbPT_mmmmmEUlmE2_EvS4_mmT0_,"axG",@progbits,_Z11fill_kernelIaZ21hipblaslt_init_deviceIaEv8ABC_dims24hipblaslt_initializationbPT_mmmmmEUlmE2_EvS4_mmT0_,comdat
.Lfunc_end102:
	.size	_Z11fill_kernelIaZ21hipblaslt_init_deviceIaEv8ABC_dims24hipblaslt_initializationbPT_mmmmmEUlmE2_EvS4_mmT0_, .Lfunc_end102-_Z11fill_kernelIaZ21hipblaslt_init_deviceIaEv8ABC_dims24hipblaslt_initializationbPT_mmmmmEUlmE2_EvS4_mmT0_
                                        ; -- End function
	.section	.AMDGPU.csdata,"",@progbits
; Kernel info:
; codeLenInByte = 3568
; NumSgprs: 22
; NumVgprs: 33
; ScratchSize: 0
; MemoryBound: 0
; FloatMode: 240
; IeeeMode: 1
; LDSByteSize: 0 bytes/workgroup (compile time only)
; SGPRBlocks: 2
; VGPRBlocks: 4
; NumSGPRsForWavesPerEU: 22
; NumVGPRsForWavesPerEU: 33
; Occupancy: 16
; WaveLimiterHint : 0
; COMPUTE_PGM_RSRC2:SCRATCH_EN: 0
; COMPUTE_PGM_RSRC2:USER_SGPR: 15
; COMPUTE_PGM_RSRC2:TRAP_HANDLER: 0
; COMPUTE_PGM_RSRC2:TGID_X_EN: 1
; COMPUTE_PGM_RSRC2:TGID_Y_EN: 0
; COMPUTE_PGM_RSRC2:TGID_Z_EN: 0
; COMPUTE_PGM_RSRC2:TIDIG_COMP_CNT: 0
	.section	.text._Z11fill_kernelIaZ21hipblaslt_init_deviceIaEv8ABC_dims24hipblaslt_initializationbPT_mmmmmEUlmE3_EvS4_mmT0_,"axG",@progbits,_Z11fill_kernelIaZ21hipblaslt_init_deviceIaEv8ABC_dims24hipblaslt_initializationbPT_mmmmmEUlmE3_EvS4_mmT0_,comdat
	.protected	_Z11fill_kernelIaZ21hipblaslt_init_deviceIaEv8ABC_dims24hipblaslt_initializationbPT_mmmmmEUlmE3_EvS4_mmT0_ ; -- Begin function _Z11fill_kernelIaZ21hipblaslt_init_deviceIaEv8ABC_dims24hipblaslt_initializationbPT_mmmmmEUlmE3_EvS4_mmT0_
	.globl	_Z11fill_kernelIaZ21hipblaslt_init_deviceIaEv8ABC_dims24hipblaslt_initializationbPT_mmmmmEUlmE3_EvS4_mmT0_
	.p2align	8
	.type	_Z11fill_kernelIaZ21hipblaslt_init_deviceIaEv8ABC_dims24hipblaslt_initializationbPT_mmmmmEUlmE3_EvS4_mmT0_,@function
_Z11fill_kernelIaZ21hipblaslt_init_deviceIaEv8ABC_dims24hipblaslt_initializationbPT_mmmmmEUlmE3_EvS4_mmT0_: ; @_Z11fill_kernelIaZ21hipblaslt_init_deviceIaEv8ABC_dims24hipblaslt_initializationbPT_mmmmmEUlmE3_EvS4_mmT0_
; %bb.0:
	s_clause 0x1
	s_load_b32 s2, s[0:1], 0x44
	s_load_b128 s[16:19], s[0:1], 0x0
	s_waitcnt lgkmcnt(0)
	s_and_b32 s2, s2, 0xffff
	s_delay_alu instid0(SALU_CYCLE_1) | instskip(SKIP_2) | instid1(VALU_DEP_1)
	v_mad_u64_u32 v[1:2], null, s15, s2, v[0:1]
	v_mov_b32_e32 v2, 0
	s_mov_b32 s2, exec_lo
	v_cmpx_gt_u64_e64 s[18:19], v[1:2]
	s_cbranch_execz .LBB103_14
; %bb.1:
	s_clause 0x1
	s_load_b64 s[2:3], s[0:1], 0x10
	s_load_b256 s[4:11], s[0:1], 0x18
	v_mov_b32_e32 v0, v2
	s_waitcnt lgkmcnt(0)
	v_add_co_u32 v6, s0, v1, s2
	s_delay_alu instid0(VALU_DEP_1) | instskip(NEXT) | instid1(VALU_DEP_1)
	v_add_co_ci_u32_e64 v7, null, 0, s3, s0
	v_or_b32_e32 v1, s9, v7
	s_delay_alu instid0(VALU_DEP_1) | instskip(SKIP_1) | instid1(SALU_CYCLE_1)
	v_cmp_ne_u64_e32 vcc_lo, 0, v[0:1]
                                        ; implicit-def: $vgpr0_vgpr1
	s_and_saveexec_b32 s0, vcc_lo
	s_xor_b32 s1, exec_lo, s0
	s_cbranch_execz .LBB103_3
; %bb.2:
	v_cvt_f32_u32_e32 v0, s8
	v_cvt_f32_u32_e32 v1, s9
	s_sub_u32 s0, 0, s8
	s_subb_u32 s2, 0, s9
	s_delay_alu instid0(VALU_DEP_1) | instskip(NEXT) | instid1(VALU_DEP_1)
	v_fmamk_f32 v0, v1, 0x4f800000, v0
	v_rcp_f32_e32 v0, v0
	s_waitcnt_depctr 0xfff
	v_mul_f32_e32 v0, 0x5f7ffffc, v0
	s_delay_alu instid0(VALU_DEP_1) | instskip(NEXT) | instid1(VALU_DEP_1)
	v_mul_f32_e32 v1, 0x2f800000, v0
	v_trunc_f32_e32 v1, v1
	s_delay_alu instid0(VALU_DEP_1) | instskip(SKIP_1) | instid1(VALU_DEP_2)
	v_fmamk_f32 v0, v1, 0xcf800000, v0
	v_cvt_u32_f32_e32 v1, v1
	v_cvt_u32_f32_e32 v0, v0
	s_delay_alu instid0(VALU_DEP_2) | instskip(NEXT) | instid1(VALU_DEP_2)
	v_mul_lo_u32 v2, s0, v1
	v_mul_hi_u32 v3, s0, v0
	v_mul_lo_u32 v4, s2, v0
	s_delay_alu instid0(VALU_DEP_2) | instskip(SKIP_1) | instid1(VALU_DEP_2)
	v_add_nc_u32_e32 v2, v3, v2
	v_mul_lo_u32 v3, s0, v0
	v_add_nc_u32_e32 v2, v2, v4
	s_delay_alu instid0(VALU_DEP_2) | instskip(NEXT) | instid1(VALU_DEP_2)
	v_mul_hi_u32 v4, v0, v3
	v_mul_lo_u32 v5, v0, v2
	v_mul_hi_u32 v8, v0, v2
	v_mul_hi_u32 v9, v1, v3
	v_mul_lo_u32 v3, v1, v3
	v_mul_hi_u32 v10, v1, v2
	v_mul_lo_u32 v2, v1, v2
	v_add_co_u32 v4, vcc_lo, v4, v5
	v_add_co_ci_u32_e32 v5, vcc_lo, 0, v8, vcc_lo
	s_delay_alu instid0(VALU_DEP_2) | instskip(NEXT) | instid1(VALU_DEP_2)
	v_add_co_u32 v3, vcc_lo, v4, v3
	v_add_co_ci_u32_e32 v3, vcc_lo, v5, v9, vcc_lo
	v_add_co_ci_u32_e32 v4, vcc_lo, 0, v10, vcc_lo
	s_delay_alu instid0(VALU_DEP_2) | instskip(NEXT) | instid1(VALU_DEP_2)
	v_add_co_u32 v2, vcc_lo, v3, v2
	v_add_co_ci_u32_e32 v3, vcc_lo, 0, v4, vcc_lo
	s_delay_alu instid0(VALU_DEP_2) | instskip(NEXT) | instid1(VALU_DEP_2)
	v_add_co_u32 v0, vcc_lo, v0, v2
	v_add_co_ci_u32_e32 v1, vcc_lo, v1, v3, vcc_lo
	s_delay_alu instid0(VALU_DEP_2) | instskip(SKIP_1) | instid1(VALU_DEP_3)
	v_mul_hi_u32 v2, s0, v0
	v_mul_lo_u32 v4, s2, v0
	v_mul_lo_u32 v3, s0, v1
	s_delay_alu instid0(VALU_DEP_1) | instskip(SKIP_1) | instid1(VALU_DEP_2)
	v_add_nc_u32_e32 v2, v2, v3
	v_mul_lo_u32 v3, s0, v0
	v_add_nc_u32_e32 v2, v2, v4
	s_delay_alu instid0(VALU_DEP_2) | instskip(NEXT) | instid1(VALU_DEP_2)
	v_mul_hi_u32 v4, v0, v3
	v_mul_lo_u32 v5, v0, v2
	v_mul_hi_u32 v8, v0, v2
	v_mul_hi_u32 v9, v1, v3
	v_mul_lo_u32 v3, v1, v3
	v_mul_hi_u32 v10, v1, v2
	v_mul_lo_u32 v2, v1, v2
	v_add_co_u32 v4, vcc_lo, v4, v5
	v_add_co_ci_u32_e32 v5, vcc_lo, 0, v8, vcc_lo
	s_delay_alu instid0(VALU_DEP_2) | instskip(NEXT) | instid1(VALU_DEP_2)
	v_add_co_u32 v3, vcc_lo, v4, v3
	v_add_co_ci_u32_e32 v3, vcc_lo, v5, v9, vcc_lo
	v_add_co_ci_u32_e32 v4, vcc_lo, 0, v10, vcc_lo
	s_delay_alu instid0(VALU_DEP_2) | instskip(NEXT) | instid1(VALU_DEP_2)
	v_add_co_u32 v2, vcc_lo, v3, v2
	v_add_co_ci_u32_e32 v3, vcc_lo, 0, v4, vcc_lo
	s_delay_alu instid0(VALU_DEP_2) | instskip(NEXT) | instid1(VALU_DEP_2)
	v_add_co_u32 v4, vcc_lo, v0, v2
	v_add_co_ci_u32_e32 v8, vcc_lo, v1, v3, vcc_lo
	s_delay_alu instid0(VALU_DEP_2) | instskip(SKIP_1) | instid1(VALU_DEP_3)
	v_mul_hi_u32 v9, v6, v4
	v_mad_u64_u32 v[2:3], null, v7, v4, 0
	v_mad_u64_u32 v[0:1], null, v6, v8, 0
	;; [unrolled: 1-line block ×3, first 2 shown]
	s_delay_alu instid0(VALU_DEP_2) | instskip(NEXT) | instid1(VALU_DEP_3)
	v_add_co_u32 v0, vcc_lo, v9, v0
	v_add_co_ci_u32_e32 v1, vcc_lo, 0, v1, vcc_lo
	s_delay_alu instid0(VALU_DEP_2) | instskip(NEXT) | instid1(VALU_DEP_2)
	v_add_co_u32 v0, vcc_lo, v0, v2
	v_add_co_ci_u32_e32 v0, vcc_lo, v1, v3, vcc_lo
	v_add_co_ci_u32_e32 v1, vcc_lo, 0, v5, vcc_lo
	s_delay_alu instid0(VALU_DEP_2) | instskip(NEXT) | instid1(VALU_DEP_2)
	v_add_co_u32 v2, vcc_lo, v0, v4
	v_add_co_ci_u32_e32 v3, vcc_lo, 0, v1, vcc_lo
	s_delay_alu instid0(VALU_DEP_2) | instskip(SKIP_1) | instid1(VALU_DEP_3)
	v_mul_lo_u32 v4, s9, v2
	v_mad_u64_u32 v[0:1], null, s8, v2, 0
	v_mul_lo_u32 v5, s8, v3
	s_delay_alu instid0(VALU_DEP_2) | instskip(NEXT) | instid1(VALU_DEP_2)
	v_sub_co_u32 v0, vcc_lo, v6, v0
	v_add3_u32 v1, v1, v5, v4
	s_delay_alu instid0(VALU_DEP_1) | instskip(NEXT) | instid1(VALU_DEP_1)
	v_sub_nc_u32_e32 v4, v7, v1
	v_subrev_co_ci_u32_e64 v4, s0, s9, v4, vcc_lo
	v_add_co_u32 v5, s0, v2, 2
	s_delay_alu instid0(VALU_DEP_1) | instskip(SKIP_3) | instid1(VALU_DEP_3)
	v_add_co_ci_u32_e64 v8, s0, 0, v3, s0
	v_sub_co_u32 v9, s0, v0, s8
	v_sub_co_ci_u32_e32 v1, vcc_lo, v7, v1, vcc_lo
	v_subrev_co_ci_u32_e64 v4, s0, 0, v4, s0
	v_cmp_le_u32_e32 vcc_lo, s8, v9
	s_delay_alu instid0(VALU_DEP_3) | instskip(SKIP_1) | instid1(VALU_DEP_4)
	v_cmp_eq_u32_e64 s0, s9, v1
	v_cndmask_b32_e64 v9, 0, -1, vcc_lo
	v_cmp_le_u32_e32 vcc_lo, s9, v4
	v_cndmask_b32_e64 v10, 0, -1, vcc_lo
	v_cmp_le_u32_e32 vcc_lo, s8, v0
	;; [unrolled: 2-line block ×3, first 2 shown]
	v_cndmask_b32_e64 v11, 0, -1, vcc_lo
	v_cmp_eq_u32_e32 vcc_lo, s9, v4
	s_delay_alu instid0(VALU_DEP_2) | instskip(SKIP_3) | instid1(VALU_DEP_3)
	v_cndmask_b32_e64 v0, v11, v0, s0
	v_cndmask_b32_e32 v4, v10, v9, vcc_lo
	v_add_co_u32 v9, vcc_lo, v2, 1
	v_add_co_ci_u32_e32 v10, vcc_lo, 0, v3, vcc_lo
	v_cmp_ne_u32_e32 vcc_lo, 0, v4
	s_delay_alu instid0(VALU_DEP_2) | instskip(SKIP_1) | instid1(VALU_DEP_2)
	v_dual_cndmask_b32 v1, v10, v8 :: v_dual_cndmask_b32 v4, v9, v5
	v_cmp_ne_u32_e32 vcc_lo, 0, v0
	v_dual_cndmask_b32 v1, v3, v1 :: v_dual_cndmask_b32 v0, v2, v4
.LBB103_3:
	s_and_not1_saveexec_b32 s0, s1
	s_cbranch_execz .LBB103_5
; %bb.4:
	v_cvt_f32_u32_e32 v0, s8
	s_sub_i32 s1, 0, s8
	s_delay_alu instid0(VALU_DEP_1) | instskip(SKIP_2) | instid1(VALU_DEP_1)
	v_rcp_iflag_f32_e32 v0, v0
	s_waitcnt_depctr 0xfff
	v_mul_f32_e32 v0, 0x4f7ffffe, v0
	v_cvt_u32_f32_e32 v0, v0
	s_delay_alu instid0(VALU_DEP_1) | instskip(NEXT) | instid1(VALU_DEP_1)
	v_mul_lo_u32 v1, s1, v0
	v_mul_hi_u32 v1, v0, v1
	s_delay_alu instid0(VALU_DEP_1) | instskip(NEXT) | instid1(VALU_DEP_1)
	v_add_nc_u32_e32 v0, v0, v1
	v_mul_hi_u32 v0, v6, v0
	s_delay_alu instid0(VALU_DEP_1) | instskip(SKIP_1) | instid1(VALU_DEP_2)
	v_mul_lo_u32 v1, v0, s8
	v_add_nc_u32_e32 v2, 1, v0
	v_sub_nc_u32_e32 v1, v6, v1
	s_delay_alu instid0(VALU_DEP_1) | instskip(SKIP_1) | instid1(VALU_DEP_2)
	v_subrev_nc_u32_e32 v3, s8, v1
	v_cmp_le_u32_e32 vcc_lo, s8, v1
	v_dual_cndmask_b32 v1, v1, v3 :: v_dual_cndmask_b32 v0, v0, v2
	s_delay_alu instid0(VALU_DEP_1) | instskip(NEXT) | instid1(VALU_DEP_2)
	v_cmp_le_u32_e32 vcc_lo, s8, v1
	v_dual_mov_b32 v1, 0 :: v_dual_add_nc_u32 v2, 1, v0
	s_delay_alu instid0(VALU_DEP_1)
	v_cndmask_b32_e32 v0, v0, v2, vcc_lo
.LBB103_5:
	s_or_b32 exec_lo, exec_lo, s0
	s_delay_alu instid0(VALU_DEP_1) | instskip(NEXT) | instid1(VALU_DEP_2)
	v_mul_lo_u32 v4, v1, s8
	v_mul_lo_u32 v5, v0, s9
	v_mad_u64_u32 v[2:3], null, v0, s8, 0
	s_delay_alu instid0(VALU_DEP_1) | instskip(NEXT) | instid1(VALU_DEP_2)
	v_add3_u32 v3, v3, v5, v4
	v_sub_co_u32 v4, vcc_lo, v6, v2
	v_mov_b32_e32 v2, 0
	s_delay_alu instid0(VALU_DEP_3) | instskip(NEXT) | instid1(VALU_DEP_1)
	v_sub_co_ci_u32_e32 v5, vcc_lo, v7, v3, vcc_lo
	v_or_b32_e32 v3, s11, v5
	s_delay_alu instid0(VALU_DEP_1) | instskip(SKIP_1) | instid1(SALU_CYCLE_1)
	v_cmp_ne_u64_e32 vcc_lo, 0, v[2:3]
                                        ; implicit-def: $vgpr2_vgpr3
	s_and_saveexec_b32 s0, vcc_lo
	s_xor_b32 s1, exec_lo, s0
	s_cbranch_execz .LBB103_7
; %bb.6:
	v_cvt_f32_u32_e32 v2, s10
	v_cvt_f32_u32_e32 v3, s11
	s_sub_u32 s0, 0, s10
	s_subb_u32 s2, 0, s11
	s_delay_alu instid0(VALU_DEP_1) | instskip(NEXT) | instid1(VALU_DEP_1)
	v_fmamk_f32 v2, v3, 0x4f800000, v2
	v_rcp_f32_e32 v2, v2
	s_waitcnt_depctr 0xfff
	v_mul_f32_e32 v2, 0x5f7ffffc, v2
	s_delay_alu instid0(VALU_DEP_1) | instskip(NEXT) | instid1(VALU_DEP_1)
	v_mul_f32_e32 v3, 0x2f800000, v2
	v_trunc_f32_e32 v3, v3
	s_delay_alu instid0(VALU_DEP_1) | instskip(SKIP_1) | instid1(VALU_DEP_2)
	v_fmamk_f32 v2, v3, 0xcf800000, v2
	v_cvt_u32_f32_e32 v3, v3
	v_cvt_u32_f32_e32 v2, v2
	s_delay_alu instid0(VALU_DEP_2) | instskip(NEXT) | instid1(VALU_DEP_2)
	v_mul_lo_u32 v8, s0, v3
	v_mul_hi_u32 v9, s0, v2
	v_mul_lo_u32 v10, s2, v2
	s_delay_alu instid0(VALU_DEP_2) | instskip(SKIP_1) | instid1(VALU_DEP_2)
	v_add_nc_u32_e32 v8, v9, v8
	v_mul_lo_u32 v9, s0, v2
	v_add_nc_u32_e32 v8, v8, v10
	s_delay_alu instid0(VALU_DEP_2) | instskip(NEXT) | instid1(VALU_DEP_2)
	v_mul_hi_u32 v10, v2, v9
	v_mul_lo_u32 v11, v2, v8
	v_mul_hi_u32 v12, v2, v8
	v_mul_hi_u32 v13, v3, v9
	v_mul_lo_u32 v9, v3, v9
	v_mul_hi_u32 v14, v3, v8
	v_mul_lo_u32 v8, v3, v8
	v_add_co_u32 v10, vcc_lo, v10, v11
	v_add_co_ci_u32_e32 v11, vcc_lo, 0, v12, vcc_lo
	s_delay_alu instid0(VALU_DEP_2) | instskip(NEXT) | instid1(VALU_DEP_2)
	v_add_co_u32 v9, vcc_lo, v10, v9
	v_add_co_ci_u32_e32 v9, vcc_lo, v11, v13, vcc_lo
	v_add_co_ci_u32_e32 v10, vcc_lo, 0, v14, vcc_lo
	s_delay_alu instid0(VALU_DEP_2) | instskip(NEXT) | instid1(VALU_DEP_2)
	v_add_co_u32 v8, vcc_lo, v9, v8
	v_add_co_ci_u32_e32 v9, vcc_lo, 0, v10, vcc_lo
	s_delay_alu instid0(VALU_DEP_2) | instskip(NEXT) | instid1(VALU_DEP_2)
	v_add_co_u32 v2, vcc_lo, v2, v8
	v_add_co_ci_u32_e32 v3, vcc_lo, v3, v9, vcc_lo
	s_delay_alu instid0(VALU_DEP_2) | instskip(SKIP_1) | instid1(VALU_DEP_3)
	v_mul_hi_u32 v8, s0, v2
	v_mul_lo_u32 v10, s2, v2
	v_mul_lo_u32 v9, s0, v3
	s_delay_alu instid0(VALU_DEP_1) | instskip(SKIP_1) | instid1(VALU_DEP_2)
	v_add_nc_u32_e32 v8, v8, v9
	v_mul_lo_u32 v9, s0, v2
	v_add_nc_u32_e32 v8, v8, v10
	s_delay_alu instid0(VALU_DEP_2) | instskip(NEXT) | instid1(VALU_DEP_2)
	v_mul_hi_u32 v10, v2, v9
	v_mul_lo_u32 v11, v2, v8
	v_mul_hi_u32 v12, v2, v8
	v_mul_hi_u32 v13, v3, v9
	v_mul_lo_u32 v9, v3, v9
	v_mul_hi_u32 v14, v3, v8
	v_mul_lo_u32 v8, v3, v8
	v_add_co_u32 v10, vcc_lo, v10, v11
	v_add_co_ci_u32_e32 v11, vcc_lo, 0, v12, vcc_lo
	s_delay_alu instid0(VALU_DEP_2) | instskip(NEXT) | instid1(VALU_DEP_2)
	v_add_co_u32 v9, vcc_lo, v10, v9
	v_add_co_ci_u32_e32 v9, vcc_lo, v11, v13, vcc_lo
	v_add_co_ci_u32_e32 v10, vcc_lo, 0, v14, vcc_lo
	s_delay_alu instid0(VALU_DEP_2) | instskip(NEXT) | instid1(VALU_DEP_2)
	v_add_co_u32 v8, vcc_lo, v9, v8
	v_add_co_ci_u32_e32 v9, vcc_lo, 0, v10, vcc_lo
	s_delay_alu instid0(VALU_DEP_2) | instskip(NEXT) | instid1(VALU_DEP_2)
	v_add_co_u32 v10, vcc_lo, v2, v8
	v_add_co_ci_u32_e32 v12, vcc_lo, v3, v9, vcc_lo
	s_delay_alu instid0(VALU_DEP_2) | instskip(SKIP_1) | instid1(VALU_DEP_3)
	v_mul_hi_u32 v13, v4, v10
	v_mad_u64_u32 v[8:9], null, v5, v10, 0
	v_mad_u64_u32 v[2:3], null, v4, v12, 0
	;; [unrolled: 1-line block ×3, first 2 shown]
	s_delay_alu instid0(VALU_DEP_2) | instskip(NEXT) | instid1(VALU_DEP_3)
	v_add_co_u32 v2, vcc_lo, v13, v2
	v_add_co_ci_u32_e32 v3, vcc_lo, 0, v3, vcc_lo
	s_delay_alu instid0(VALU_DEP_2) | instskip(NEXT) | instid1(VALU_DEP_2)
	v_add_co_u32 v2, vcc_lo, v2, v8
	v_add_co_ci_u32_e32 v2, vcc_lo, v3, v9, vcc_lo
	v_add_co_ci_u32_e32 v3, vcc_lo, 0, v11, vcc_lo
	s_delay_alu instid0(VALU_DEP_2) | instskip(NEXT) | instid1(VALU_DEP_2)
	v_add_co_u32 v8, vcc_lo, v2, v10
	v_add_co_ci_u32_e32 v9, vcc_lo, 0, v3, vcc_lo
	s_delay_alu instid0(VALU_DEP_2) | instskip(SKIP_1) | instid1(VALU_DEP_3)
	v_mul_lo_u32 v10, s11, v8
	v_mad_u64_u32 v[2:3], null, s10, v8, 0
	v_mul_lo_u32 v11, s10, v9
	s_delay_alu instid0(VALU_DEP_2) | instskip(NEXT) | instid1(VALU_DEP_2)
	v_sub_co_u32 v2, vcc_lo, v4, v2
	v_add3_u32 v3, v3, v11, v10
	s_delay_alu instid0(VALU_DEP_1) | instskip(NEXT) | instid1(VALU_DEP_1)
	v_sub_nc_u32_e32 v10, v5, v3
	v_subrev_co_ci_u32_e64 v10, s0, s11, v10, vcc_lo
	v_add_co_u32 v11, s0, v8, 2
	s_delay_alu instid0(VALU_DEP_1) | instskip(SKIP_3) | instid1(VALU_DEP_3)
	v_add_co_ci_u32_e64 v12, s0, 0, v9, s0
	v_sub_co_u32 v13, s0, v2, s10
	v_sub_co_ci_u32_e32 v3, vcc_lo, v5, v3, vcc_lo
	v_subrev_co_ci_u32_e64 v10, s0, 0, v10, s0
	v_cmp_le_u32_e32 vcc_lo, s10, v13
	s_delay_alu instid0(VALU_DEP_3) | instskip(SKIP_1) | instid1(VALU_DEP_4)
	v_cmp_eq_u32_e64 s0, s11, v3
	v_cndmask_b32_e64 v13, 0, -1, vcc_lo
	v_cmp_le_u32_e32 vcc_lo, s11, v10
	v_cndmask_b32_e64 v14, 0, -1, vcc_lo
	v_cmp_le_u32_e32 vcc_lo, s10, v2
	;; [unrolled: 2-line block ×3, first 2 shown]
	v_cndmask_b32_e64 v15, 0, -1, vcc_lo
	v_cmp_eq_u32_e32 vcc_lo, s11, v10
	s_delay_alu instid0(VALU_DEP_2) | instskip(SKIP_3) | instid1(VALU_DEP_3)
	v_cndmask_b32_e64 v2, v15, v2, s0
	v_cndmask_b32_e32 v10, v14, v13, vcc_lo
	v_add_co_u32 v13, vcc_lo, v8, 1
	v_add_co_ci_u32_e32 v14, vcc_lo, 0, v9, vcc_lo
	v_cmp_ne_u32_e32 vcc_lo, 0, v10
	s_delay_alu instid0(VALU_DEP_2) | instskip(SKIP_1) | instid1(VALU_DEP_2)
	v_dual_cndmask_b32 v3, v14, v12 :: v_dual_cndmask_b32 v10, v13, v11
	v_cmp_ne_u32_e32 vcc_lo, 0, v2
	v_dual_cndmask_b32 v3, v9, v3 :: v_dual_cndmask_b32 v2, v8, v10
.LBB103_7:
	s_and_not1_saveexec_b32 s0, s1
	s_cbranch_execz .LBB103_9
; %bb.8:
	v_cvt_f32_u32_e32 v2, s10
	s_sub_i32 s1, 0, s10
	s_delay_alu instid0(VALU_DEP_1) | instskip(SKIP_2) | instid1(VALU_DEP_1)
	v_rcp_iflag_f32_e32 v2, v2
	s_waitcnt_depctr 0xfff
	v_mul_f32_e32 v2, 0x4f7ffffe, v2
	v_cvt_u32_f32_e32 v2, v2
	s_delay_alu instid0(VALU_DEP_1) | instskip(NEXT) | instid1(VALU_DEP_1)
	v_mul_lo_u32 v3, s1, v2
	v_mul_hi_u32 v3, v2, v3
	s_delay_alu instid0(VALU_DEP_1) | instskip(NEXT) | instid1(VALU_DEP_1)
	v_add_nc_u32_e32 v2, v2, v3
	v_mul_hi_u32 v2, v4, v2
	s_delay_alu instid0(VALU_DEP_1) | instskip(SKIP_1) | instid1(VALU_DEP_2)
	v_mul_lo_u32 v3, v2, s10
	v_add_nc_u32_e32 v8, 1, v2
	v_sub_nc_u32_e32 v3, v4, v3
	s_delay_alu instid0(VALU_DEP_1) | instskip(SKIP_1) | instid1(VALU_DEP_2)
	v_subrev_nc_u32_e32 v9, s10, v3
	v_cmp_le_u32_e32 vcc_lo, s10, v3
	v_dual_cndmask_b32 v3, v3, v9 :: v_dual_cndmask_b32 v2, v2, v8
	s_delay_alu instid0(VALU_DEP_1) | instskip(NEXT) | instid1(VALU_DEP_2)
	v_cmp_le_u32_e32 vcc_lo, s10, v3
	v_dual_mov_b32 v3, 0 :: v_dual_add_nc_u32 v8, 1, v2
	s_delay_alu instid0(VALU_DEP_1)
	v_cndmask_b32_e32 v2, v2, v8, vcc_lo
.LBB103_9:
	s_or_b32 exec_lo, exec_lo, s0
	s_delay_alu instid0(VALU_DEP_1) | instskip(NEXT) | instid1(VALU_DEP_2)
	v_mul_lo_u32 v12, v3, s10
	v_mul_lo_u32 v13, v2, s11
	v_mad_u64_u32 v[8:9], null, v2, s10, 0
	v_mad_u64_u32 v[10:11], null, v0, s6, v[2:3]
	v_mul_lo_u32 v0, v0, s7
	v_mul_lo_u32 v1, v1, s6
	s_delay_alu instid0(VALU_DEP_4) | instskip(NEXT) | instid1(VALU_DEP_2)
	v_add3_u32 v2, v9, v13, v12
	v_add3_u32 v3, v1, v11, v0
	v_sub_co_u32 v0, vcc_lo, v4, v8
	s_delay_alu instid0(VALU_DEP_3) | instskip(SKIP_1) | instid1(VALU_DEP_4)
	v_sub_co_ci_u32_e32 v1, vcc_lo, v5, v2, vcc_lo
	v_mul_lo_u32 v4, v10, s5
	v_mul_lo_u32 v5, v3, s4
                                        ; implicit-def: $vgpr8
	s_delay_alu instid0(VALU_DEP_3) | instskip(NEXT) | instid1(VALU_DEP_1)
	v_mad_u64_u32 v[2:3], null, v10, s4, v[0:1]
	v_add3_u32 v3, v5, v3, v4
	s_delay_alu instid0(VALU_DEP_2) | instskip(NEXT) | instid1(VALU_DEP_2)
	v_cvt_f64_u32_e32 v[4:5], v2
	v_cvt_f64_u32_e32 v[0:1], v3
	v_cmp_lt_u64_e32 vcc_lo, 0x3fffffff, v[2:3]
                                        ; implicit-def: $vgpr2_vgpr3
	s_delay_alu instid0(VALU_DEP_2) | instskip(NEXT) | instid1(VALU_DEP_1)
	v_ldexp_f64 v[0:1], v[0:1], 32
	v_add_f64 v[4:5], v[0:1], v[4:5]
                                        ; implicit-def: $vgpr0_vgpr1
	s_and_saveexec_b32 s0, vcc_lo
	s_delay_alu instid0(SALU_CYCLE_1)
	s_xor_b32 s1, exec_lo, s0
	s_cbranch_execz .LBB103_11
; %bb.10:
	s_delay_alu instid0(VALU_DEP_1)
	v_trig_preop_f64 v[0:1], v[4:5], 0
	v_trig_preop_f64 v[2:3], v[4:5], 1
	;; [unrolled: 1-line block ×3, first 2 shown]
	v_mov_b32_e32 v24, 0
	s_mov_b32 s2, 0x54442d18
	s_mov_b32 s3, 0x3ff921fb
	;; [unrolled: 1-line block ×4, first 2 shown]
	s_delay_alu instid0(VALU_DEP_4) | instskip(NEXT) | instid1(VALU_DEP_4)
	v_mul_f64 v[8:9], v[0:1], v[4:5]
	v_mul_f64 v[10:11], v[2:3], v[4:5]
	s_delay_alu instid0(VALU_DEP_4) | instskip(NEXT) | instid1(VALU_DEP_3)
	v_mul_f64 v[22:23], v[16:17], v[4:5]
	v_fma_f64 v[0:1], v[0:1], v[4:5], -v[8:9]
	s_delay_alu instid0(VALU_DEP_3) | instskip(NEXT) | instid1(VALU_DEP_3)
	v_fma_f64 v[2:3], v[2:3], v[4:5], -v[10:11]
	v_fma_f64 v[4:5], v[16:17], v[4:5], -v[22:23]
	s_delay_alu instid0(VALU_DEP_3) | instskip(NEXT) | instid1(VALU_DEP_1)
	v_add_f64 v[12:13], v[10:11], v[0:1]
	v_add_f64 v[14:15], v[12:13], -v[10:11]
	v_add_f64 v[20:21], v[8:9], v[12:13]
	s_delay_alu instid0(VALU_DEP_2) | instskip(SKIP_1) | instid1(VALU_DEP_3)
	v_add_f64 v[18:19], v[12:13], -v[14:15]
	v_add_f64 v[0:1], v[0:1], -v[14:15]
	v_ldexp_f64 v[14:15], v[20:21], -2
	v_add_f64 v[8:9], v[20:21], -v[8:9]
	s_delay_alu instid0(VALU_DEP_4) | instskip(SKIP_1) | instid1(VALU_DEP_4)
	v_add_f64 v[10:11], v[10:11], -v[18:19]
	v_add_f64 v[18:19], v[22:23], v[2:3]
	v_cmp_neq_f64_e64 vcc_lo, 0x7ff00000, |v[14:15]|
	s_delay_alu instid0(VALU_DEP_4) | instskip(NEXT) | instid1(VALU_DEP_4)
	v_add_f64 v[8:9], v[12:13], -v[8:9]
	v_add_f64 v[0:1], v[0:1], v[10:11]
	v_fract_f64_e32 v[10:11], v[14:15]
	s_delay_alu instid0(VALU_DEP_2) | instskip(NEXT) | instid1(VALU_DEP_2)
	v_add_f64 v[12:13], v[18:19], v[0:1]
	v_dual_cndmask_b32 v11, 0, v11 :: v_dual_cndmask_b32 v10, 0, v10
	s_delay_alu instid0(VALU_DEP_1) | instskip(NEXT) | instid1(VALU_DEP_3)
	v_ldexp_f64 v[10:11], v[10:11], 2
	v_add_f64 v[14:15], v[8:9], v[12:13]
	s_delay_alu instid0(VALU_DEP_1) | instskip(SKIP_1) | instid1(VALU_DEP_2)
	v_add_f64 v[20:21], v[14:15], v[10:11]
	v_add_f64 v[8:9], v[14:15], -v[8:9]
	v_cmp_gt_f64_e32 vcc_lo, 0, v[20:21]
	v_add_f64 v[20:21], v[18:19], -v[22:23]
	s_delay_alu instid0(VALU_DEP_3) | instskip(SKIP_1) | instid1(VALU_DEP_3)
	v_add_f64 v[8:9], v[12:13], -v[8:9]
	v_cndmask_b32_e64 v25, 0, 0x40100000, vcc_lo
	v_add_f64 v[29:30], v[18:19], -v[20:21]
	v_add_f64 v[2:3], v[2:3], -v[20:21]
	s_delay_alu instid0(VALU_DEP_3) | instskip(SKIP_1) | instid1(VALU_DEP_4)
	v_add_f64 v[10:11], v[10:11], v[24:25]
	v_add_f64 v[25:26], v[12:13], -v[18:19]
	v_add_f64 v[20:21], v[22:23], -v[29:30]
	s_delay_alu instid0(VALU_DEP_3) | instskip(NEXT) | instid1(VALU_DEP_3)
	v_add_f64 v[27:28], v[14:15], v[10:11]
	v_add_f64 v[31:32], v[12:13], -v[25:26]
	v_add_f64 v[0:1], v[0:1], -v[25:26]
	s_delay_alu instid0(VALU_DEP_4) | instskip(NEXT) | instid1(VALU_DEP_4)
	v_add_f64 v[2:3], v[2:3], v[20:21]
	v_cvt_i32_f64_e32 v27, v[27:28]
	s_delay_alu instid0(VALU_DEP_4) | instskip(NEXT) | instid1(VALU_DEP_2)
	v_add_f64 v[18:19], v[18:19], -v[31:32]
	v_cvt_f64_i32_e32 v[25:26], v27
	s_delay_alu instid0(VALU_DEP_2) | instskip(NEXT) | instid1(VALU_DEP_2)
	v_add_f64 v[0:1], v[0:1], v[18:19]
	v_add_f64 v[10:11], v[10:11], -v[25:26]
	s_delay_alu instid0(VALU_DEP_2) | instskip(NEXT) | instid1(VALU_DEP_2)
	v_add_f64 v[0:1], v[2:3], v[0:1]
	v_add_f64 v[2:3], v[14:15], v[10:11]
	s_delay_alu instid0(VALU_DEP_2) | instskip(NEXT) | instid1(VALU_DEP_2)
	v_add_f64 v[0:1], v[4:5], v[0:1]
	v_add_f64 v[4:5], v[2:3], -v[10:11]
	v_cmp_le_f64_e32 vcc_lo, 0.5, v[2:3]
	s_delay_alu instid0(VALU_DEP_3) | instskip(NEXT) | instid1(VALU_DEP_3)
	v_add_f64 v[0:1], v[8:9], v[0:1]
	v_add_f64 v[4:5], v[14:15], -v[4:5]
	v_cndmask_b32_e64 v25, 0, 0x3ff00000, vcc_lo
	v_add_co_ci_u32_e64 v8, s0, 0, v27, vcc_lo
	s_delay_alu instid0(VALU_DEP_2) | instskip(NEXT) | instid1(VALU_DEP_4)
	v_add_f64 v[2:3], v[2:3], -v[24:25]
	v_add_f64 v[0:1], v[0:1], v[4:5]
	s_delay_alu instid0(VALU_DEP_1) | instskip(NEXT) | instid1(VALU_DEP_1)
	v_add_f64 v[4:5], v[2:3], v[0:1]
	v_mul_f64 v[9:10], v[4:5], s[2:3]
	v_add_f64 v[2:3], v[4:5], -v[2:3]
	s_delay_alu instid0(VALU_DEP_2) | instskip(NEXT) | instid1(VALU_DEP_2)
	v_fma_f64 v[11:12], v[4:5], s[2:3], -v[9:10]
	v_add_f64 v[0:1], v[0:1], -v[2:3]
	s_delay_alu instid0(VALU_DEP_2) | instskip(NEXT) | instid1(VALU_DEP_1)
	v_fma_f64 v[2:3], v[4:5], s[4:5], v[11:12]
	v_fma_f64 v[2:3], v[0:1], s[2:3], v[2:3]
	s_delay_alu instid0(VALU_DEP_1) | instskip(NEXT) | instid1(VALU_DEP_1)
	v_add_f64 v[0:1], v[9:10], v[2:3]
	v_add_f64 v[4:5], v[0:1], -v[9:10]
	s_delay_alu instid0(VALU_DEP_1)
	v_add_f64 v[2:3], v[2:3], -v[4:5]
                                        ; implicit-def: $vgpr4_vgpr5
.LBB103_11:
	s_and_not1_saveexec_b32 s0, s1
	s_cbranch_execz .LBB103_13
; %bb.12:
	s_mov_b32 s2, 0x6dc9c883
	s_mov_b32 s3, 0x3fe45f30
	;; [unrolled: 1-line block ×3, first 2 shown]
	s_delay_alu instid0(VALU_DEP_1) | instskip(SKIP_3) | instid1(VALU_DEP_1)
	v_mul_f64 v[0:1], v[4:5], s[2:3]
	s_mov_b32 s2, 0x54442d18
	s_mov_b32 s3, 0xbff921fb
	;; [unrolled: 1-line block ×3, first 2 shown]
	v_rndne_f64_e32 v[8:9], v[0:1]
	s_delay_alu instid0(VALU_DEP_1) | instskip(SKIP_3) | instid1(VALU_DEP_2)
	v_fma_f64 v[0:1], v[8:9], s[2:3], v[4:5]
	v_mul_f64 v[2:3], v[8:9], s[4:5]
	s_mov_b32 s2, 0x252049c0
	s_mov_b32 s3, 0xb97b839a
	v_fma_f64 v[10:11], v[8:9], s[4:5], v[0:1]
	s_delay_alu instid0(VALU_DEP_2) | instskip(SKIP_1) | instid1(VALU_DEP_1)
	v_add_f64 v[4:5], v[0:1], v[2:3]
	s_mov_b32 s5, 0x3c91a626
	v_add_f64 v[0:1], v[0:1], -v[4:5]
	s_delay_alu instid0(VALU_DEP_3) | instskip(NEXT) | instid1(VALU_DEP_2)
	v_add_f64 v[4:5], v[4:5], -v[10:11]
	v_add_f64 v[0:1], v[0:1], v[2:3]
	v_fma_f64 v[2:3], v[8:9], s[4:5], v[2:3]
	s_delay_alu instid0(VALU_DEP_2) | instskip(NEXT) | instid1(VALU_DEP_1)
	v_add_f64 v[0:1], v[4:5], v[0:1]
	v_add_f64 v[0:1], v[0:1], -v[2:3]
	s_delay_alu instid0(VALU_DEP_1) | instskip(SKIP_1) | instid1(VALU_DEP_2)
	v_fma_f64 v[2:3], v[8:9], s[2:3], v[0:1]
	v_cvt_i32_f64_e32 v8, v[8:9]
	v_add_f64 v[0:1], v[10:11], v[2:3]
	s_delay_alu instid0(VALU_DEP_1) | instskip(NEXT) | instid1(VALU_DEP_1)
	v_add_f64 v[4:5], v[0:1], -v[10:11]
	v_add_f64 v[2:3], v[2:3], -v[4:5]
.LBB103_13:
	s_or_b32 exec_lo, exec_lo, s0
	v_mul_f64 v[4:5], v[0:1], v[0:1]
	s_mov_b32 s0, 0xb42fdfa7
	s_mov_b32 s2, 0xf9a43bb8
	;; [unrolled: 1-line block ×4, first 2 shown]
	s_delay_alu instid0(VALU_DEP_2) | instskip(NEXT) | instid1(VALU_DEP_2)
	v_mul_f64 v[17:18], v[2:3], 0.5
	v_fma_f64 v[9:10], v[4:5], s[2:3], s[0:1]
	s_mov_b32 s0, 0x796cde01
	s_mov_b32 s1, 0x3ec71de3
	;; [unrolled: 1-line block ×4, first 2 shown]
	v_mul_f64 v[13:14], v[4:5], 0.5
	v_mul_f64 v[19:20], v[0:1], -v[4:5]
	s_delay_alu instid0(VALU_DEP_3) | instskip(SKIP_2) | instid1(SALU_CYCLE_1)
	v_fma_f64 v[9:10], v[4:5], v[9:10], s[0:1]
	s_mov_b32 s0, 0x46cc5e42
	s_mov_b32 s1, 0xbda907db
	v_fma_f64 v[11:12], v[4:5], s[0:1], s[2:3]
	s_mov_b32 s0, 0x19e83e5c
	s_mov_b32 s1, 0xbf2a01a0
	s_delay_alu instid0(VALU_DEP_4) | instskip(NEXT) | instid1(VALU_DEP_3)
	v_add_f64 v[15:16], -v[13:14], 1.0
	v_fma_f64 v[9:10], v[4:5], v[9:10], s[0:1]
	s_mov_b32 s0, 0xa17f65f6
	s_mov_b32 s1, 0xbe927e4f
	s_delay_alu instid0(VALU_DEP_3) | instid1(SALU_CYCLE_1)
	v_fma_f64 v[11:12], v[4:5], v[11:12], s[0:1]
	s_mov_b32 s0, 0x11110bb3
	s_mov_b32 s1, 0x3f811111
	s_delay_alu instid0(VALU_DEP_3) | instskip(NEXT) | instid1(VALU_DEP_3)
	v_add_f64 v[21:22], -v[15:16], 1.0
	v_fma_f64 v[9:10], v[4:5], v[9:10], s[0:1]
	s_mov_b32 s0, 0x19f4ec90
	s_mov_b32 s1, 0x3efa01a0
	s_delay_alu instid0(VALU_DEP_3) | instid1(SALU_CYCLE_1)
	v_fma_f64 v[11:12], v[4:5], v[11:12], s[0:1]
	s_mov_b32 s0, 0x16c16967
	s_mov_b32 s1, 0xbf56c16c
	s_delay_alu instid0(VALU_DEP_3) | instskip(NEXT) | instid1(VALU_DEP_3)
	v_add_f64 v[13:14], v[21:22], -v[13:14]
	v_fma_f64 v[9:10], v[19:20], v[9:10], v[17:18]
	v_mul_f64 v[17:18], v[4:5], v[4:5]
	s_delay_alu instid0(VALU_DEP_4) | instskip(SKIP_2) | instid1(VALU_DEP_3)
	v_fma_f64 v[11:12], v[4:5], v[11:12], s[0:1]
	s_mov_b32 s1, 0x3fa55555
	s_mov_b32 s0, 0x55555555
	v_fma_f64 v[9:10], v[4:5], v[9:10], -v[2:3]
	v_fma_f64 v[2:3], v[0:1], -v[2:3], v[13:14]
	s_delay_alu instid0(VALU_DEP_3)
	v_fma_f64 v[4:5], v[4:5], v[11:12], s[0:1]
	s_mov_b32 s1, 0xbfc55555
	s_delay_alu instid0(VALU_DEP_3) | instid1(SALU_CYCLE_1)
	v_fma_f64 v[9:10], v[19:20], s[0:1], v[9:10]
	s_delay_alu instid0(VALU_DEP_2) | instskip(NEXT) | instid1(VALU_DEP_2)
	v_fma_f64 v[2:3], v[17:18], v[4:5], v[2:3]
	v_add_f64 v[0:1], v[0:1], -v[9:10]
	s_delay_alu instid0(VALU_DEP_2) | instskip(NEXT) | instid1(VALU_DEP_2)
	v_add_f64 v[2:3], v[15:16], v[2:3]
	v_xor_b32_e32 v1, 0x80000000, v1
	v_and_b32_e32 v4, 1, v8
	s_delay_alu instid0(VALU_DEP_1) | instskip(NEXT) | instid1(VALU_DEP_3)
	v_cmp_eq_u32_e32 vcc_lo, 0, v4
	v_dual_cndmask_b32 v1, v1, v3 :: v_dual_lshlrev_b32 v4, 30, v8
	v_cndmask_b32_e32 v0, v0, v2, vcc_lo
	s_delay_alu instid0(VALU_DEP_2) | instskip(NEXT) | instid1(VALU_DEP_1)
	v_and_b32_e32 v2, 0x80000000, v4
	v_xor_b32_e32 v1, v1, v2
	s_delay_alu instid0(VALU_DEP_1)
	v_cvt_i32_f64_e32 v2, v[0:1]
	v_add_co_u32 v0, vcc_lo, s16, v6
	v_add_co_ci_u32_e32 v1, vcc_lo, s17, v7, vcc_lo
	global_store_b8 v[0:1], v2, off
.LBB103_14:
	s_nop 0
	s_sendmsg sendmsg(MSG_DEALLOC_VGPRS)
	s_endpgm
	.section	.rodata,"a",@progbits
	.p2align	6, 0x0
	.amdhsa_kernel _Z11fill_kernelIaZ21hipblaslt_init_deviceIaEv8ABC_dims24hipblaslt_initializationbPT_mmmmmEUlmE3_EvS4_mmT0_
		.amdhsa_group_segment_fixed_size 0
		.amdhsa_private_segment_fixed_size 0
		.amdhsa_kernarg_size 312
		.amdhsa_user_sgpr_count 15
		.amdhsa_user_sgpr_dispatch_ptr 0
		.amdhsa_user_sgpr_queue_ptr 0
		.amdhsa_user_sgpr_kernarg_segment_ptr 1
		.amdhsa_user_sgpr_dispatch_id 0
		.amdhsa_user_sgpr_private_segment_size 0
		.amdhsa_wavefront_size32 1
		.amdhsa_uses_dynamic_stack 0
		.amdhsa_enable_private_segment 0
		.amdhsa_system_sgpr_workgroup_id_x 1
		.amdhsa_system_sgpr_workgroup_id_y 0
		.amdhsa_system_sgpr_workgroup_id_z 0
		.amdhsa_system_sgpr_workgroup_info 0
		.amdhsa_system_vgpr_workitem_id 0
		.amdhsa_next_free_vgpr 33
		.amdhsa_next_free_sgpr 20
		.amdhsa_reserve_vcc 1
		.amdhsa_float_round_mode_32 0
		.amdhsa_float_round_mode_16_64 0
		.amdhsa_float_denorm_mode_32 3
		.amdhsa_float_denorm_mode_16_64 3
		.amdhsa_dx10_clamp 1
		.amdhsa_ieee_mode 1
		.amdhsa_fp16_overflow 0
		.amdhsa_workgroup_processor_mode 1
		.amdhsa_memory_ordered 1
		.amdhsa_forward_progress 0
		.amdhsa_shared_vgpr_count 0
		.amdhsa_exception_fp_ieee_invalid_op 0
		.amdhsa_exception_fp_denorm_src 0
		.amdhsa_exception_fp_ieee_div_zero 0
		.amdhsa_exception_fp_ieee_overflow 0
		.amdhsa_exception_fp_ieee_underflow 0
		.amdhsa_exception_fp_ieee_inexact 0
		.amdhsa_exception_int_div_zero 0
	.end_amdhsa_kernel
	.section	.text._Z11fill_kernelIaZ21hipblaslt_init_deviceIaEv8ABC_dims24hipblaslt_initializationbPT_mmmmmEUlmE3_EvS4_mmT0_,"axG",@progbits,_Z11fill_kernelIaZ21hipblaslt_init_deviceIaEv8ABC_dims24hipblaslt_initializationbPT_mmmmmEUlmE3_EvS4_mmT0_,comdat
.Lfunc_end103:
	.size	_Z11fill_kernelIaZ21hipblaslt_init_deviceIaEv8ABC_dims24hipblaslt_initializationbPT_mmmmmEUlmE3_EvS4_mmT0_, .Lfunc_end103-_Z11fill_kernelIaZ21hipblaslt_init_deviceIaEv8ABC_dims24hipblaslt_initializationbPT_mmmmmEUlmE3_EvS4_mmT0_
                                        ; -- End function
	.section	.AMDGPU.csdata,"",@progbits
; Kernel info:
; codeLenInByte = 3580
; NumSgprs: 22
; NumVgprs: 33
; ScratchSize: 0
; MemoryBound: 0
; FloatMode: 240
; IeeeMode: 1
; LDSByteSize: 0 bytes/workgroup (compile time only)
; SGPRBlocks: 2
; VGPRBlocks: 4
; NumSGPRsForWavesPerEU: 22
; NumVGPRsForWavesPerEU: 33
; Occupancy: 16
; WaveLimiterHint : 0
; COMPUTE_PGM_RSRC2:SCRATCH_EN: 0
; COMPUTE_PGM_RSRC2:USER_SGPR: 15
; COMPUTE_PGM_RSRC2:TRAP_HANDLER: 0
; COMPUTE_PGM_RSRC2:TGID_X_EN: 1
; COMPUTE_PGM_RSRC2:TGID_Y_EN: 0
; COMPUTE_PGM_RSRC2:TGID_Z_EN: 0
; COMPUTE_PGM_RSRC2:TIDIG_COMP_CNT: 0
	.section	.text._Z11fill_kernelIaZ21hipblaslt_init_deviceIaEv8ABC_dims24hipblaslt_initializationbPT_mmmmmEUlmE4_EvS4_mmT0_,"axG",@progbits,_Z11fill_kernelIaZ21hipblaslt_init_deviceIaEv8ABC_dims24hipblaslt_initializationbPT_mmmmmEUlmE4_EvS4_mmT0_,comdat
	.protected	_Z11fill_kernelIaZ21hipblaslt_init_deviceIaEv8ABC_dims24hipblaslt_initializationbPT_mmmmmEUlmE4_EvS4_mmT0_ ; -- Begin function _Z11fill_kernelIaZ21hipblaslt_init_deviceIaEv8ABC_dims24hipblaslt_initializationbPT_mmmmmEUlmE4_EvS4_mmT0_
	.globl	_Z11fill_kernelIaZ21hipblaslt_init_deviceIaEv8ABC_dims24hipblaslt_initializationbPT_mmmmmEUlmE4_EvS4_mmT0_
	.p2align	8
	.type	_Z11fill_kernelIaZ21hipblaslt_init_deviceIaEv8ABC_dims24hipblaslt_initializationbPT_mmmmmEUlmE4_EvS4_mmT0_,@function
_Z11fill_kernelIaZ21hipblaslt_init_deviceIaEv8ABC_dims24hipblaslt_initializationbPT_mmmmmEUlmE4_EvS4_mmT0_: ; @_Z11fill_kernelIaZ21hipblaslt_init_deviceIaEv8ABC_dims24hipblaslt_initializationbPT_mmmmmEUlmE4_EvS4_mmT0_
; %bb.0:
	s_clause 0x1
	s_load_b32 s2, s[0:1], 0x2c
	s_load_b128 s[4:7], s[0:1], 0x0
	s_waitcnt lgkmcnt(0)
	s_and_b32 s2, s2, 0xffff
	s_delay_alu instid0(SALU_CYCLE_1) | instskip(SKIP_2) | instid1(VALU_DEP_1)
	v_mad_u64_u32 v[1:2], null, s15, s2, v[0:1]
	v_mov_b32_e32 v2, 0
	s_mov_b32 s2, exec_lo
	v_cmpx_gt_u64_e64 s[6:7], v[1:2]
	s_cbranch_execz .LBB104_2
; %bb.1:
	s_load_b64 s[0:1], s[0:1], 0x10
	s_mov_b32 s2, 0x19660d
	s_waitcnt lgkmcnt(0)
	v_add_co_u32 v10, s0, v1, s0
	s_delay_alu instid0(VALU_DEP_1) | instskip(SKIP_1) | instid1(VALU_DEP_2)
	v_add_co_ci_u32_e64 v11, null, 0, s1, s0
	s_mov_b32 s0, 0xffe00000
	v_mad_u64_u32 v[0:1], null, v10, s2, 0x3c6ef35f
	s_mov_b32 s1, 0x41efffff
	s_delay_alu instid0(VALU_DEP_1) | instskip(NEXT) | instid1(VALU_DEP_1)
	v_mad_u64_u32 v[2:3], null, 0x19660d, v11, v[1:2]
	v_mov_b32_e32 v1, v2
	s_delay_alu instid0(VALU_DEP_1) | instskip(NEXT) | instid1(VALU_DEP_1)
	v_lshlrev_b64 v[2:3], 13, v[0:1]
	v_xor_b32_e32 v1, v3, v1
	s_delay_alu instid0(VALU_DEP_2) | instskip(NEXT) | instid1(VALU_DEP_1)
	v_xor_b32_e32 v0, v2, v0
	v_lshrrev_b64 v[2:3], 17, v[0:1]
	s_delay_alu instid0(VALU_DEP_1) | instskip(NEXT) | instid1(VALU_DEP_2)
	v_xor_b32_e32 v1, v3, v1
	v_xor_b32_e32 v0, v2, v0
	s_delay_alu instid0(VALU_DEP_1) | instskip(NEXT) | instid1(VALU_DEP_1)
	v_lshlrev_b64 v[2:3], 5, v[0:1]
	v_xor_b32_e32 v1, v3, v1
	s_delay_alu instid0(VALU_DEP_2) | instskip(NEXT) | instid1(VALU_DEP_1)
	v_xor_b32_e32 v0, v2, v0
	v_lshlrev_b64 v[2:3], 13, v[0:1]
	s_delay_alu instid0(VALU_DEP_1) | instskip(NEXT) | instid1(VALU_DEP_2)
	v_xor_b32_e32 v1, v3, v1
	v_xor_b32_e32 v0, v2, v0
	s_delay_alu instid0(VALU_DEP_1) | instskip(NEXT) | instid1(VALU_DEP_1)
	v_lshrrev_b64 v[2:3], 17, v[0:1]
	v_xor_b32_e32 v1, v3, v1
	s_delay_alu instid0(VALU_DEP_2) | instskip(NEXT) | instid1(VALU_DEP_1)
	v_xor_b32_e32 v0, v2, v0
	v_lshlrev_b64 v[2:3], 5, v[0:1]
	s_delay_alu instid0(VALU_DEP_1) | instskip(NEXT) | instid1(VALU_DEP_2)
	v_xor_b32_e32 v1, v3, v1
	v_xor_b32_e32 v0, v2, v0
	s_delay_alu instid0(VALU_DEP_1) | instskip(NEXT) | instid1(VALU_DEP_1)
	v_lshlrev_b64 v[2:3], 13, v[0:1]
	v_xor_b32_e32 v1, v3, v1
	s_delay_alu instid0(VALU_DEP_2) | instskip(NEXT) | instid1(VALU_DEP_1)
	v_xor_b32_e32 v0, v2, v0
	v_alignbit_b32 v1, v1, v0, 17
	s_delay_alu instid0(VALU_DEP_1) | instskip(NEXT) | instid1(VALU_DEP_1)
	v_xor_b32_e32 v0, v1, v0
	v_lshlrev_b32_e32 v1, 5, v0
	s_delay_alu instid0(VALU_DEP_1) | instskip(NEXT) | instid1(VALU_DEP_1)
	v_xor_b32_e32 v0, v1, v0
	v_cvt_f64_u32_e32 v[0:1], v0
	s_delay_alu instid0(VALU_DEP_1) | instskip(SKIP_1) | instid1(VALU_DEP_2)
	v_div_scale_f64 v[2:3], null, s[0:1], s[0:1], v[0:1]
	v_div_scale_f64 v[8:9], vcc_lo, v[0:1], s[0:1], v[0:1]
	v_rcp_f64_e32 v[4:5], v[2:3]
	s_waitcnt_depctr 0xfff
	v_fma_f64 v[6:7], -v[2:3], v[4:5], 1.0
	s_delay_alu instid0(VALU_DEP_1) | instskip(NEXT) | instid1(VALU_DEP_1)
	v_fma_f64 v[4:5], v[4:5], v[6:7], v[4:5]
	v_fma_f64 v[6:7], -v[2:3], v[4:5], 1.0
	s_delay_alu instid0(VALU_DEP_1) | instskip(NEXT) | instid1(VALU_DEP_1)
	v_fma_f64 v[4:5], v[4:5], v[6:7], v[4:5]
	v_mul_f64 v[6:7], v[8:9], v[4:5]
	s_delay_alu instid0(VALU_DEP_1) | instskip(NEXT) | instid1(VALU_DEP_1)
	v_fma_f64 v[2:3], -v[2:3], v[6:7], v[8:9]
	v_div_fmas_f64 v[2:3], v[2:3], v[4:5], v[6:7]
	s_delay_alu instid0(VALU_DEP_1) | instskip(NEXT) | instid1(VALU_DEP_1)
	v_div_fixup_f64 v[0:1], v[2:3], s[0:1], v[0:1]
	v_fma_f64 v[0:1], v[0:1], 2.0, -1.0
	s_delay_alu instid0(VALU_DEP_1) | instskip(NEXT) | instid1(VALU_DEP_1)
	v_rndne_f64_e32 v[0:1], v[0:1]
	v_cmp_ngt_f64_e32 vcc_lo, 0xc0600000, v[0:1]
	v_cmp_nlt_f64_e64 s0, 0x405fc000, v[0:1]
	v_cndmask_b32_e32 v2, 0xc0600000, v1, vcc_lo
	s_delay_alu instid0(VALU_DEP_2) | instskip(SKIP_1) | instid1(VALU_DEP_2)
	s_and_b32 vcc_lo, s0, vcc_lo
	v_cndmask_b32_e32 v0, 0, v0, vcc_lo
	v_cndmask_b32_e64 v1, 0x405fc000, v2, s0
	s_delay_alu instid0(VALU_DEP_1)
	v_cvt_i32_f64_e32 v2, v[0:1]
	v_add_co_u32 v0, vcc_lo, s4, v10
	v_add_co_ci_u32_e32 v1, vcc_lo, s5, v11, vcc_lo
	global_store_b8 v[0:1], v2, off
.LBB104_2:
	s_nop 0
	s_sendmsg sendmsg(MSG_DEALLOC_VGPRS)
	s_endpgm
	.section	.rodata,"a",@progbits
	.p2align	6, 0x0
	.amdhsa_kernel _Z11fill_kernelIaZ21hipblaslt_init_deviceIaEv8ABC_dims24hipblaslt_initializationbPT_mmmmmEUlmE4_EvS4_mmT0_
		.amdhsa_group_segment_fixed_size 0
		.amdhsa_private_segment_fixed_size 0
		.amdhsa_kernarg_size 288
		.amdhsa_user_sgpr_count 15
		.amdhsa_user_sgpr_dispatch_ptr 0
		.amdhsa_user_sgpr_queue_ptr 0
		.amdhsa_user_sgpr_kernarg_segment_ptr 1
		.amdhsa_user_sgpr_dispatch_id 0
		.amdhsa_user_sgpr_private_segment_size 0
		.amdhsa_wavefront_size32 1
		.amdhsa_uses_dynamic_stack 0
		.amdhsa_enable_private_segment 0
		.amdhsa_system_sgpr_workgroup_id_x 1
		.amdhsa_system_sgpr_workgroup_id_y 0
		.amdhsa_system_sgpr_workgroup_id_z 0
		.amdhsa_system_sgpr_workgroup_info 0
		.amdhsa_system_vgpr_workitem_id 0
		.amdhsa_next_free_vgpr 12
		.amdhsa_next_free_sgpr 16
		.amdhsa_reserve_vcc 1
		.amdhsa_float_round_mode_32 0
		.amdhsa_float_round_mode_16_64 0
		.amdhsa_float_denorm_mode_32 3
		.amdhsa_float_denorm_mode_16_64 3
		.amdhsa_dx10_clamp 1
		.amdhsa_ieee_mode 1
		.amdhsa_fp16_overflow 0
		.amdhsa_workgroup_processor_mode 1
		.amdhsa_memory_ordered 1
		.amdhsa_forward_progress 0
		.amdhsa_shared_vgpr_count 0
		.amdhsa_exception_fp_ieee_invalid_op 0
		.amdhsa_exception_fp_denorm_src 0
		.amdhsa_exception_fp_ieee_div_zero 0
		.amdhsa_exception_fp_ieee_overflow 0
		.amdhsa_exception_fp_ieee_underflow 0
		.amdhsa_exception_fp_ieee_inexact 0
		.amdhsa_exception_int_div_zero 0
	.end_amdhsa_kernel
	.section	.text._Z11fill_kernelIaZ21hipblaslt_init_deviceIaEv8ABC_dims24hipblaslt_initializationbPT_mmmmmEUlmE4_EvS4_mmT0_,"axG",@progbits,_Z11fill_kernelIaZ21hipblaslt_init_deviceIaEv8ABC_dims24hipblaslt_initializationbPT_mmmmmEUlmE4_EvS4_mmT0_,comdat
.Lfunc_end104:
	.size	_Z11fill_kernelIaZ21hipblaslt_init_deviceIaEv8ABC_dims24hipblaslt_initializationbPT_mmmmmEUlmE4_EvS4_mmT0_, .Lfunc_end104-_Z11fill_kernelIaZ21hipblaslt_init_deviceIaEv8ABC_dims24hipblaslt_initializationbPT_mmmmmEUlmE4_EvS4_mmT0_
                                        ; -- End function
	.section	.AMDGPU.csdata,"",@progbits
; Kernel info:
; codeLenInByte = 556
; NumSgprs: 18
; NumVgprs: 12
; ScratchSize: 0
; MemoryBound: 0
; FloatMode: 240
; IeeeMode: 1
; LDSByteSize: 0 bytes/workgroup (compile time only)
; SGPRBlocks: 2
; VGPRBlocks: 1
; NumSGPRsForWavesPerEU: 18
; NumVGPRsForWavesPerEU: 12
; Occupancy: 16
; WaveLimiterHint : 0
; COMPUTE_PGM_RSRC2:SCRATCH_EN: 0
; COMPUTE_PGM_RSRC2:USER_SGPR: 15
; COMPUTE_PGM_RSRC2:TRAP_HANDLER: 0
; COMPUTE_PGM_RSRC2:TGID_X_EN: 1
; COMPUTE_PGM_RSRC2:TGID_Y_EN: 0
; COMPUTE_PGM_RSRC2:TGID_Z_EN: 0
; COMPUTE_PGM_RSRC2:TIDIG_COMP_CNT: 0
	.section	.text._Z11fill_kernelIaZ21hipblaslt_init_deviceIaEv8ABC_dims24hipblaslt_initializationbPT_mmmmmEUlmE5_EvS4_mmT0_,"axG",@progbits,_Z11fill_kernelIaZ21hipblaslt_init_deviceIaEv8ABC_dims24hipblaslt_initializationbPT_mmmmmEUlmE5_EvS4_mmT0_,comdat
	.protected	_Z11fill_kernelIaZ21hipblaslt_init_deviceIaEv8ABC_dims24hipblaslt_initializationbPT_mmmmmEUlmE5_EvS4_mmT0_ ; -- Begin function _Z11fill_kernelIaZ21hipblaslt_init_deviceIaEv8ABC_dims24hipblaslt_initializationbPT_mmmmmEUlmE5_EvS4_mmT0_
	.globl	_Z11fill_kernelIaZ21hipblaslt_init_deviceIaEv8ABC_dims24hipblaslt_initializationbPT_mmmmmEUlmE5_EvS4_mmT0_
	.p2align	8
	.type	_Z11fill_kernelIaZ21hipblaslt_init_deviceIaEv8ABC_dims24hipblaslt_initializationbPT_mmmmmEUlmE5_EvS4_mmT0_,@function
_Z11fill_kernelIaZ21hipblaslt_init_deviceIaEv8ABC_dims24hipblaslt_initializationbPT_mmmmmEUlmE5_EvS4_mmT0_: ; @_Z11fill_kernelIaZ21hipblaslt_init_deviceIaEv8ABC_dims24hipblaslt_initializationbPT_mmmmmEUlmE5_EvS4_mmT0_
; %bb.0:
	s_endpgm
	.section	.rodata,"a",@progbits
	.p2align	6, 0x0
	.amdhsa_kernel _Z11fill_kernelIaZ21hipblaslt_init_deviceIaEv8ABC_dims24hipblaslt_initializationbPT_mmmmmEUlmE5_EvS4_mmT0_
		.amdhsa_group_segment_fixed_size 0
		.amdhsa_private_segment_fixed_size 0
		.amdhsa_kernarg_size 28
		.amdhsa_user_sgpr_count 15
		.amdhsa_user_sgpr_dispatch_ptr 0
		.amdhsa_user_sgpr_queue_ptr 0
		.amdhsa_user_sgpr_kernarg_segment_ptr 1
		.amdhsa_user_sgpr_dispatch_id 0
		.amdhsa_user_sgpr_private_segment_size 0
		.amdhsa_wavefront_size32 1
		.amdhsa_uses_dynamic_stack 0
		.amdhsa_enable_private_segment 0
		.amdhsa_system_sgpr_workgroup_id_x 1
		.amdhsa_system_sgpr_workgroup_id_y 0
		.amdhsa_system_sgpr_workgroup_id_z 0
		.amdhsa_system_sgpr_workgroup_info 0
		.amdhsa_system_vgpr_workitem_id 0
		.amdhsa_next_free_vgpr 1
		.amdhsa_next_free_sgpr 1
		.amdhsa_reserve_vcc 0
		.amdhsa_float_round_mode_32 0
		.amdhsa_float_round_mode_16_64 0
		.amdhsa_float_denorm_mode_32 3
		.amdhsa_float_denorm_mode_16_64 3
		.amdhsa_dx10_clamp 1
		.amdhsa_ieee_mode 1
		.amdhsa_fp16_overflow 0
		.amdhsa_workgroup_processor_mode 1
		.amdhsa_memory_ordered 1
		.amdhsa_forward_progress 0
		.amdhsa_shared_vgpr_count 0
		.amdhsa_exception_fp_ieee_invalid_op 0
		.amdhsa_exception_fp_denorm_src 0
		.amdhsa_exception_fp_ieee_div_zero 0
		.amdhsa_exception_fp_ieee_overflow 0
		.amdhsa_exception_fp_ieee_underflow 0
		.amdhsa_exception_fp_ieee_inexact 0
		.amdhsa_exception_int_div_zero 0
	.end_amdhsa_kernel
	.section	.text._Z11fill_kernelIaZ21hipblaslt_init_deviceIaEv8ABC_dims24hipblaslt_initializationbPT_mmmmmEUlmE5_EvS4_mmT0_,"axG",@progbits,_Z11fill_kernelIaZ21hipblaslt_init_deviceIaEv8ABC_dims24hipblaslt_initializationbPT_mmmmmEUlmE5_EvS4_mmT0_,comdat
.Lfunc_end105:
	.size	_Z11fill_kernelIaZ21hipblaslt_init_deviceIaEv8ABC_dims24hipblaslt_initializationbPT_mmmmmEUlmE5_EvS4_mmT0_, .Lfunc_end105-_Z11fill_kernelIaZ21hipblaslt_init_deviceIaEv8ABC_dims24hipblaslt_initializationbPT_mmmmmEUlmE5_EvS4_mmT0_
                                        ; -- End function
	.section	.AMDGPU.csdata,"",@progbits
; Kernel info:
; codeLenInByte = 4
; NumSgprs: 0
; NumVgprs: 0
; ScratchSize: 0
; MemoryBound: 0
; FloatMode: 240
; IeeeMode: 1
; LDSByteSize: 0 bytes/workgroup (compile time only)
; SGPRBlocks: 0
; VGPRBlocks: 0
; NumSGPRsForWavesPerEU: 1
; NumVGPRsForWavesPerEU: 1
; Occupancy: 16
; WaveLimiterHint : 0
; COMPUTE_PGM_RSRC2:SCRATCH_EN: 0
; COMPUTE_PGM_RSRC2:USER_SGPR: 15
; COMPUTE_PGM_RSRC2:TRAP_HANDLER: 0
; COMPUTE_PGM_RSRC2:TGID_X_EN: 1
; COMPUTE_PGM_RSRC2:TGID_Y_EN: 0
; COMPUTE_PGM_RSRC2:TGID_Z_EN: 0
; COMPUTE_PGM_RSRC2:TIDIG_COMP_CNT: 0
	.section	.text._Z11fill_kernelIaZ21hipblaslt_init_deviceIaEv8ABC_dims24hipblaslt_initializationbPT_mmmmmEUlmE6_EvS4_mmT0_,"axG",@progbits,_Z11fill_kernelIaZ21hipblaslt_init_deviceIaEv8ABC_dims24hipblaslt_initializationbPT_mmmmmEUlmE6_EvS4_mmT0_,comdat
	.protected	_Z11fill_kernelIaZ21hipblaslt_init_deviceIaEv8ABC_dims24hipblaslt_initializationbPT_mmmmmEUlmE6_EvS4_mmT0_ ; -- Begin function _Z11fill_kernelIaZ21hipblaslt_init_deviceIaEv8ABC_dims24hipblaslt_initializationbPT_mmmmmEUlmE6_EvS4_mmT0_
	.globl	_Z11fill_kernelIaZ21hipblaslt_init_deviceIaEv8ABC_dims24hipblaslt_initializationbPT_mmmmmEUlmE6_EvS4_mmT0_
	.p2align	8
	.type	_Z11fill_kernelIaZ21hipblaslt_init_deviceIaEv8ABC_dims24hipblaslt_initializationbPT_mmmmmEUlmE6_EvS4_mmT0_,@function
_Z11fill_kernelIaZ21hipblaslt_init_deviceIaEv8ABC_dims24hipblaslt_initializationbPT_mmmmmEUlmE6_EvS4_mmT0_: ; @_Z11fill_kernelIaZ21hipblaslt_init_deviceIaEv8ABC_dims24hipblaslt_initializationbPT_mmmmmEUlmE6_EvS4_mmT0_
; %bb.0:
	s_clause 0x1
	s_load_b32 s2, s[0:1], 0x2c
	s_load_b128 s[4:7], s[0:1], 0x0
	s_waitcnt lgkmcnt(0)
	s_and_b32 s2, s2, 0xffff
	s_delay_alu instid0(SALU_CYCLE_1) | instskip(SKIP_2) | instid1(VALU_DEP_1)
	v_mad_u64_u32 v[1:2], null, s15, s2, v[0:1]
	v_mov_b32_e32 v2, 0
	s_mov_b32 s2, exec_lo
	v_cmpx_gt_u64_e64 s[6:7], v[1:2]
	s_cbranch_execz .LBB106_2
; %bb.1:
	s_load_b64 s[0:1], s[0:1], 0x10
	s_waitcnt lgkmcnt(0)
	s_add_u32 s0, s0, s4
	s_addc_u32 s1, s1, s5
	v_add_co_u32 v0, s0, s0, v1
	s_delay_alu instid0(VALU_DEP_1)
	v_add_co_ci_u32_e64 v1, null, s1, 0, s0
	global_store_b8 v[0:1], v2, off
.LBB106_2:
	s_nop 0
	s_sendmsg sendmsg(MSG_DEALLOC_VGPRS)
	s_endpgm
	.section	.rodata,"a",@progbits
	.p2align	6, 0x0
	.amdhsa_kernel _Z11fill_kernelIaZ21hipblaslt_init_deviceIaEv8ABC_dims24hipblaslt_initializationbPT_mmmmmEUlmE6_EvS4_mmT0_
		.amdhsa_group_segment_fixed_size 0
		.amdhsa_private_segment_fixed_size 0
		.amdhsa_kernarg_size 288
		.amdhsa_user_sgpr_count 15
		.amdhsa_user_sgpr_dispatch_ptr 0
		.amdhsa_user_sgpr_queue_ptr 0
		.amdhsa_user_sgpr_kernarg_segment_ptr 1
		.amdhsa_user_sgpr_dispatch_id 0
		.amdhsa_user_sgpr_private_segment_size 0
		.amdhsa_wavefront_size32 1
		.amdhsa_uses_dynamic_stack 0
		.amdhsa_enable_private_segment 0
		.amdhsa_system_sgpr_workgroup_id_x 1
		.amdhsa_system_sgpr_workgroup_id_y 0
		.amdhsa_system_sgpr_workgroup_id_z 0
		.amdhsa_system_sgpr_workgroup_info 0
		.amdhsa_system_vgpr_workitem_id 0
		.amdhsa_next_free_vgpr 3
		.amdhsa_next_free_sgpr 16
		.amdhsa_reserve_vcc 0
		.amdhsa_float_round_mode_32 0
		.amdhsa_float_round_mode_16_64 0
		.amdhsa_float_denorm_mode_32 3
		.amdhsa_float_denorm_mode_16_64 3
		.amdhsa_dx10_clamp 1
		.amdhsa_ieee_mode 1
		.amdhsa_fp16_overflow 0
		.amdhsa_workgroup_processor_mode 1
		.amdhsa_memory_ordered 1
		.amdhsa_forward_progress 0
		.amdhsa_shared_vgpr_count 0
		.amdhsa_exception_fp_ieee_invalid_op 0
		.amdhsa_exception_fp_denorm_src 0
		.amdhsa_exception_fp_ieee_div_zero 0
		.amdhsa_exception_fp_ieee_overflow 0
		.amdhsa_exception_fp_ieee_underflow 0
		.amdhsa_exception_fp_ieee_inexact 0
		.amdhsa_exception_int_div_zero 0
	.end_amdhsa_kernel
	.section	.text._Z11fill_kernelIaZ21hipblaslt_init_deviceIaEv8ABC_dims24hipblaslt_initializationbPT_mmmmmEUlmE6_EvS4_mmT0_,"axG",@progbits,_Z11fill_kernelIaZ21hipblaslt_init_deviceIaEv8ABC_dims24hipblaslt_initializationbPT_mmmmmEUlmE6_EvS4_mmT0_,comdat
.Lfunc_end106:
	.size	_Z11fill_kernelIaZ21hipblaslt_init_deviceIaEv8ABC_dims24hipblaslt_initializationbPT_mmmmmEUlmE6_EvS4_mmT0_, .Lfunc_end106-_Z11fill_kernelIaZ21hipblaslt_init_deviceIaEv8ABC_dims24hipblaslt_initializationbPT_mmmmmEUlmE6_EvS4_mmT0_
                                        ; -- End function
	.section	.AMDGPU.csdata,"",@progbits
; Kernel info:
; codeLenInByte = 124
; NumSgprs: 16
; NumVgprs: 3
; ScratchSize: 0
; MemoryBound: 0
; FloatMode: 240
; IeeeMode: 1
; LDSByteSize: 0 bytes/workgroup (compile time only)
; SGPRBlocks: 1
; VGPRBlocks: 0
; NumSGPRsForWavesPerEU: 16
; NumVGPRsForWavesPerEU: 3
; Occupancy: 16
; WaveLimiterHint : 0
; COMPUTE_PGM_RSRC2:SCRATCH_EN: 0
; COMPUTE_PGM_RSRC2:USER_SGPR: 15
; COMPUTE_PGM_RSRC2:TRAP_HANDLER: 0
; COMPUTE_PGM_RSRC2:TGID_X_EN: 1
; COMPUTE_PGM_RSRC2:TGID_Y_EN: 0
; COMPUTE_PGM_RSRC2:TGID_Z_EN: 0
; COMPUTE_PGM_RSRC2:TIDIG_COMP_CNT: 0
	.section	.text._Z11fill_kernelIaZ21hipblaslt_init_deviceIaEv8ABC_dims24hipblaslt_initializationbPT_mmmmmEUlmE7_EvS4_mmT0_,"axG",@progbits,_Z11fill_kernelIaZ21hipblaslt_init_deviceIaEv8ABC_dims24hipblaslt_initializationbPT_mmmmmEUlmE7_EvS4_mmT0_,comdat
	.protected	_Z11fill_kernelIaZ21hipblaslt_init_deviceIaEv8ABC_dims24hipblaslt_initializationbPT_mmmmmEUlmE7_EvS4_mmT0_ ; -- Begin function _Z11fill_kernelIaZ21hipblaslt_init_deviceIaEv8ABC_dims24hipblaslt_initializationbPT_mmmmmEUlmE7_EvS4_mmT0_
	.globl	_Z11fill_kernelIaZ21hipblaslt_init_deviceIaEv8ABC_dims24hipblaslt_initializationbPT_mmmmmEUlmE7_EvS4_mmT0_
	.p2align	8
	.type	_Z11fill_kernelIaZ21hipblaslt_init_deviceIaEv8ABC_dims24hipblaslt_initializationbPT_mmmmmEUlmE7_EvS4_mmT0_,@function
_Z11fill_kernelIaZ21hipblaslt_init_deviceIaEv8ABC_dims24hipblaslt_initializationbPT_mmmmmEUlmE7_EvS4_mmT0_: ; @_Z11fill_kernelIaZ21hipblaslt_init_deviceIaEv8ABC_dims24hipblaslt_initializationbPT_mmmmmEUlmE7_EvS4_mmT0_
; %bb.0:
	s_clause 0x1
	s_load_b32 s2, s[0:1], 0x2c
	s_load_b128 s[4:7], s[0:1], 0x0
	s_waitcnt lgkmcnt(0)
	s_and_b32 s2, s2, 0xffff
	s_delay_alu instid0(SALU_CYCLE_1) | instskip(SKIP_2) | instid1(VALU_DEP_1)
	v_mad_u64_u32 v[1:2], null, s15, s2, v[0:1]
	v_mov_b32_e32 v2, 0
	s_mov_b32 s2, exec_lo
	v_cmpx_gt_u64_e64 s[6:7], v[1:2]
	s_cbranch_execz .LBB107_2
; %bb.1:
	s_load_b64 s[0:1], s[0:1], 0x10
	s_mov_b32 s2, 0x19660d
	s_waitcnt lgkmcnt(0)
	v_add_co_u32 v4, s0, v1, s0
	s_delay_alu instid0(VALU_DEP_1) | instskip(NEXT) | instid1(VALU_DEP_2)
	v_add_co_ci_u32_e64 v5, null, 0, s1, s0
	v_mad_u64_u32 v[0:1], null, v4, s2, 0x3c6ef35f
	s_delay_alu instid0(VALU_DEP_1) | instskip(NEXT) | instid1(VALU_DEP_1)
	v_mad_u64_u32 v[2:3], null, 0x19660d, v5, v[1:2]
	v_mov_b32_e32 v1, v2
	s_delay_alu instid0(VALU_DEP_1) | instskip(NEXT) | instid1(VALU_DEP_1)
	v_lshlrev_b64 v[2:3], 13, v[0:1]
	v_xor_b32_e32 v1, v3, v1
	s_delay_alu instid0(VALU_DEP_2) | instskip(NEXT) | instid1(VALU_DEP_1)
	v_xor_b32_e32 v0, v2, v0
	v_lshrrev_b64 v[2:3], 17, v[0:1]
	s_delay_alu instid0(VALU_DEP_1) | instskip(NEXT) | instid1(VALU_DEP_2)
	v_xor_b32_e32 v1, v3, v1
	v_xor_b32_e32 v0, v2, v0
	s_delay_alu instid0(VALU_DEP_1) | instskip(NEXT) | instid1(VALU_DEP_1)
	v_lshlrev_b64 v[2:3], 5, v[0:1]
	v_xor_b32_e32 v1, v3, v1
	s_delay_alu instid0(VALU_DEP_2) | instskip(NEXT) | instid1(VALU_DEP_1)
	v_xor_b32_e32 v0, v2, v0
	v_lshlrev_b64 v[2:3], 13, v[0:1]
	s_delay_alu instid0(VALU_DEP_1) | instskip(NEXT) | instid1(VALU_DEP_2)
	v_xor_b32_e32 v1, v3, v1
	v_xor_b32_e32 v0, v2, v0
	s_delay_alu instid0(VALU_DEP_1) | instskip(NEXT) | instid1(VALU_DEP_1)
	v_lshrrev_b64 v[2:3], 17, v[0:1]
	v_xor_b32_e32 v1, v3, v1
	s_delay_alu instid0(VALU_DEP_2) | instskip(NEXT) | instid1(VALU_DEP_1)
	v_xor_b32_e32 v0, v2, v0
	v_lshlrev_b64 v[2:3], 5, v[0:1]
	s_delay_alu instid0(VALU_DEP_1) | instskip(NEXT) | instid1(VALU_DEP_2)
	v_xor_b32_e32 v1, v3, v1
	v_xor_b32_e32 v0, v2, v0
	s_delay_alu instid0(VALU_DEP_1) | instskip(NEXT) | instid1(VALU_DEP_1)
	v_lshlrev_b64 v[2:3], 13, v[0:1]
	v_xor_b32_e32 v1, v3, v1
	s_delay_alu instid0(VALU_DEP_2) | instskip(NEXT) | instid1(VALU_DEP_1)
	v_xor_b32_e32 v0, v2, v0
	v_alignbit_b32 v1, v1, v0, 17
	s_delay_alu instid0(VALU_DEP_1) | instskip(NEXT) | instid1(VALU_DEP_1)
	v_xor_b32_e32 v0, v1, v0
	v_lshlrev_b32_e32 v1, 5, v0
	s_delay_alu instid0(VALU_DEP_1) | instskip(NEXT) | instid1(VALU_DEP_1)
	v_xor_b32_e32 v0, v1, v0
	v_mul_hi_u32 v1, 0xcccccccd, v0
	s_delay_alu instid0(VALU_DEP_1) | instskip(NEXT) | instid1(VALU_DEP_1)
	v_lshrrev_b32_e32 v1, 3, v1
	v_mul_lo_u32 v1, v1, 10
	s_delay_alu instid0(VALU_DEP_1) | instskip(NEXT) | instid1(VALU_DEP_1)
	v_sub_nc_u32_e32 v0, v0, v1
	v_add_nc_u16 v2, v0, 1
	v_add_co_u32 v0, vcc_lo, s4, v4
	v_add_co_ci_u32_e32 v1, vcc_lo, s5, v5, vcc_lo
	global_store_b8 v[0:1], v2, off
.LBB107_2:
	s_nop 0
	s_sendmsg sendmsg(MSG_DEALLOC_VGPRS)
	s_endpgm
	.section	.rodata,"a",@progbits
	.p2align	6, 0x0
	.amdhsa_kernel _Z11fill_kernelIaZ21hipblaslt_init_deviceIaEv8ABC_dims24hipblaslt_initializationbPT_mmmmmEUlmE7_EvS4_mmT0_
		.amdhsa_group_segment_fixed_size 0
		.amdhsa_private_segment_fixed_size 0
		.amdhsa_kernarg_size 288
		.amdhsa_user_sgpr_count 15
		.amdhsa_user_sgpr_dispatch_ptr 0
		.amdhsa_user_sgpr_queue_ptr 0
		.amdhsa_user_sgpr_kernarg_segment_ptr 1
		.amdhsa_user_sgpr_dispatch_id 0
		.amdhsa_user_sgpr_private_segment_size 0
		.amdhsa_wavefront_size32 1
		.amdhsa_uses_dynamic_stack 0
		.amdhsa_enable_private_segment 0
		.amdhsa_system_sgpr_workgroup_id_x 1
		.amdhsa_system_sgpr_workgroup_id_y 0
		.amdhsa_system_sgpr_workgroup_id_z 0
		.amdhsa_system_sgpr_workgroup_info 0
		.amdhsa_system_vgpr_workitem_id 0
		.amdhsa_next_free_vgpr 6
		.amdhsa_next_free_sgpr 16
		.amdhsa_reserve_vcc 1
		.amdhsa_float_round_mode_32 0
		.amdhsa_float_round_mode_16_64 0
		.amdhsa_float_denorm_mode_32 3
		.amdhsa_float_denorm_mode_16_64 3
		.amdhsa_dx10_clamp 1
		.amdhsa_ieee_mode 1
		.amdhsa_fp16_overflow 0
		.amdhsa_workgroup_processor_mode 1
		.amdhsa_memory_ordered 1
		.amdhsa_forward_progress 0
		.amdhsa_shared_vgpr_count 0
		.amdhsa_exception_fp_ieee_invalid_op 0
		.amdhsa_exception_fp_denorm_src 0
		.amdhsa_exception_fp_ieee_div_zero 0
		.amdhsa_exception_fp_ieee_overflow 0
		.amdhsa_exception_fp_ieee_underflow 0
		.amdhsa_exception_fp_ieee_inexact 0
		.amdhsa_exception_int_div_zero 0
	.end_amdhsa_kernel
	.section	.text._Z11fill_kernelIaZ21hipblaslt_init_deviceIaEv8ABC_dims24hipblaslt_initializationbPT_mmmmmEUlmE7_EvS4_mmT0_,"axG",@progbits,_Z11fill_kernelIaZ21hipblaslt_init_deviceIaEv8ABC_dims24hipblaslt_initializationbPT_mmmmmEUlmE7_EvS4_mmT0_,comdat
.Lfunc_end107:
	.size	_Z11fill_kernelIaZ21hipblaslt_init_deviceIaEv8ABC_dims24hipblaslt_initializationbPT_mmmmmEUlmE7_EvS4_mmT0_, .Lfunc_end107-_Z11fill_kernelIaZ21hipblaslt_init_deviceIaEv8ABC_dims24hipblaslt_initializationbPT_mmmmmEUlmE7_EvS4_mmT0_
                                        ; -- End function
	.section	.AMDGPU.csdata,"",@progbits
; Kernel info:
; codeLenInByte = 396
; NumSgprs: 18
; NumVgprs: 6
; ScratchSize: 0
; MemoryBound: 0
; FloatMode: 240
; IeeeMode: 1
; LDSByteSize: 0 bytes/workgroup (compile time only)
; SGPRBlocks: 2
; VGPRBlocks: 0
; NumSGPRsForWavesPerEU: 18
; NumVGPRsForWavesPerEU: 6
; Occupancy: 16
; WaveLimiterHint : 0
; COMPUTE_PGM_RSRC2:SCRATCH_EN: 0
; COMPUTE_PGM_RSRC2:USER_SGPR: 15
; COMPUTE_PGM_RSRC2:TRAP_HANDLER: 0
; COMPUTE_PGM_RSRC2:TGID_X_EN: 1
; COMPUTE_PGM_RSRC2:TGID_Y_EN: 0
; COMPUTE_PGM_RSRC2:TGID_Z_EN: 0
; COMPUTE_PGM_RSRC2:TIDIG_COMP_CNT: 0
	.section	.text._Z11fill_kernelIaZ21hipblaslt_init_deviceIaEv8ABC_dims24hipblaslt_initializationbPT_mmmmmEUlmE8_EvS4_mmT0_,"axG",@progbits,_Z11fill_kernelIaZ21hipblaslt_init_deviceIaEv8ABC_dims24hipblaslt_initializationbPT_mmmmmEUlmE8_EvS4_mmT0_,comdat
	.protected	_Z11fill_kernelIaZ21hipblaslt_init_deviceIaEv8ABC_dims24hipblaslt_initializationbPT_mmmmmEUlmE8_EvS4_mmT0_ ; -- Begin function _Z11fill_kernelIaZ21hipblaslt_init_deviceIaEv8ABC_dims24hipblaslt_initializationbPT_mmmmmEUlmE8_EvS4_mmT0_
	.globl	_Z11fill_kernelIaZ21hipblaslt_init_deviceIaEv8ABC_dims24hipblaslt_initializationbPT_mmmmmEUlmE8_EvS4_mmT0_
	.p2align	8
	.type	_Z11fill_kernelIaZ21hipblaslt_init_deviceIaEv8ABC_dims24hipblaslt_initializationbPT_mmmmmEUlmE8_EvS4_mmT0_,@function
_Z11fill_kernelIaZ21hipblaslt_init_deviceIaEv8ABC_dims24hipblaslt_initializationbPT_mmmmmEUlmE8_EvS4_mmT0_: ; @_Z11fill_kernelIaZ21hipblaslt_init_deviceIaEv8ABC_dims24hipblaslt_initializationbPT_mmmmmEUlmE8_EvS4_mmT0_
; %bb.0:
	s_clause 0x1
	s_load_b32 s2, s[0:1], 0x2c
	s_load_b128 s[4:7], s[0:1], 0x0
	s_waitcnt lgkmcnt(0)
	s_and_b32 s2, s2, 0xffff
	s_delay_alu instid0(SALU_CYCLE_1) | instskip(SKIP_2) | instid1(VALU_DEP_1)
	v_mad_u64_u32 v[1:2], null, s15, s2, v[0:1]
	v_mov_b32_e32 v2, 0
	s_mov_b32 s2, exec_lo
	v_cmpx_gt_u64_e64 s[6:7], v[1:2]
	s_cbranch_execz .LBB108_2
; %bb.1:
	s_load_b64 s[0:1], s[0:1], 0x10
	s_waitcnt lgkmcnt(0)
	s_add_u32 s0, s0, s4
	s_addc_u32 s1, s1, s5
	v_add_co_u32 v0, s0, s0, v1
	s_delay_alu instid0(VALU_DEP_1)
	v_add_co_ci_u32_e64 v1, null, s1, 0, s0
	global_store_b8 v[0:1], v2, off
.LBB108_2:
	s_nop 0
	s_sendmsg sendmsg(MSG_DEALLOC_VGPRS)
	s_endpgm
	.section	.rodata,"a",@progbits
	.p2align	6, 0x0
	.amdhsa_kernel _Z11fill_kernelIaZ21hipblaslt_init_deviceIaEv8ABC_dims24hipblaslt_initializationbPT_mmmmmEUlmE8_EvS4_mmT0_
		.amdhsa_group_segment_fixed_size 0
		.amdhsa_private_segment_fixed_size 0
		.amdhsa_kernarg_size 288
		.amdhsa_user_sgpr_count 15
		.amdhsa_user_sgpr_dispatch_ptr 0
		.amdhsa_user_sgpr_queue_ptr 0
		.amdhsa_user_sgpr_kernarg_segment_ptr 1
		.amdhsa_user_sgpr_dispatch_id 0
		.amdhsa_user_sgpr_private_segment_size 0
		.amdhsa_wavefront_size32 1
		.amdhsa_uses_dynamic_stack 0
		.amdhsa_enable_private_segment 0
		.amdhsa_system_sgpr_workgroup_id_x 1
		.amdhsa_system_sgpr_workgroup_id_y 0
		.amdhsa_system_sgpr_workgroup_id_z 0
		.amdhsa_system_sgpr_workgroup_info 0
		.amdhsa_system_vgpr_workitem_id 0
		.amdhsa_next_free_vgpr 3
		.amdhsa_next_free_sgpr 16
		.amdhsa_reserve_vcc 0
		.amdhsa_float_round_mode_32 0
		.amdhsa_float_round_mode_16_64 0
		.amdhsa_float_denorm_mode_32 3
		.amdhsa_float_denorm_mode_16_64 3
		.amdhsa_dx10_clamp 1
		.amdhsa_ieee_mode 1
		.amdhsa_fp16_overflow 0
		.amdhsa_workgroup_processor_mode 1
		.amdhsa_memory_ordered 1
		.amdhsa_forward_progress 0
		.amdhsa_shared_vgpr_count 0
		.amdhsa_exception_fp_ieee_invalid_op 0
		.amdhsa_exception_fp_denorm_src 0
		.amdhsa_exception_fp_ieee_div_zero 0
		.amdhsa_exception_fp_ieee_overflow 0
		.amdhsa_exception_fp_ieee_underflow 0
		.amdhsa_exception_fp_ieee_inexact 0
		.amdhsa_exception_int_div_zero 0
	.end_amdhsa_kernel
	.section	.text._Z11fill_kernelIaZ21hipblaslt_init_deviceIaEv8ABC_dims24hipblaslt_initializationbPT_mmmmmEUlmE8_EvS4_mmT0_,"axG",@progbits,_Z11fill_kernelIaZ21hipblaslt_init_deviceIaEv8ABC_dims24hipblaslt_initializationbPT_mmmmmEUlmE8_EvS4_mmT0_,comdat
.Lfunc_end108:
	.size	_Z11fill_kernelIaZ21hipblaslt_init_deviceIaEv8ABC_dims24hipblaslt_initializationbPT_mmmmmEUlmE8_EvS4_mmT0_, .Lfunc_end108-_Z11fill_kernelIaZ21hipblaslt_init_deviceIaEv8ABC_dims24hipblaslt_initializationbPT_mmmmmEUlmE8_EvS4_mmT0_
                                        ; -- End function
	.section	.AMDGPU.csdata,"",@progbits
; Kernel info:
; codeLenInByte = 124
; NumSgprs: 16
; NumVgprs: 3
; ScratchSize: 0
; MemoryBound: 0
; FloatMode: 240
; IeeeMode: 1
; LDSByteSize: 0 bytes/workgroup (compile time only)
; SGPRBlocks: 1
; VGPRBlocks: 0
; NumSGPRsForWavesPerEU: 16
; NumVGPRsForWavesPerEU: 3
; Occupancy: 16
; WaveLimiterHint : 0
; COMPUTE_PGM_RSRC2:SCRATCH_EN: 0
; COMPUTE_PGM_RSRC2:USER_SGPR: 15
; COMPUTE_PGM_RSRC2:TRAP_HANDLER: 0
; COMPUTE_PGM_RSRC2:TGID_X_EN: 1
; COMPUTE_PGM_RSRC2:TGID_Y_EN: 0
; COMPUTE_PGM_RSRC2:TGID_Z_EN: 0
; COMPUTE_PGM_RSRC2:TIDIG_COMP_CNT: 0
	.section	.text._Z11fill_kernelIaZ21hipblaslt_init_deviceIaEv8ABC_dims24hipblaslt_initializationbPT_mmmmmEUlmE9_EvS4_mmT0_,"axG",@progbits,_Z11fill_kernelIaZ21hipblaslt_init_deviceIaEv8ABC_dims24hipblaslt_initializationbPT_mmmmmEUlmE9_EvS4_mmT0_,comdat
	.protected	_Z11fill_kernelIaZ21hipblaslt_init_deviceIaEv8ABC_dims24hipblaslt_initializationbPT_mmmmmEUlmE9_EvS4_mmT0_ ; -- Begin function _Z11fill_kernelIaZ21hipblaslt_init_deviceIaEv8ABC_dims24hipblaslt_initializationbPT_mmmmmEUlmE9_EvS4_mmT0_
	.globl	_Z11fill_kernelIaZ21hipblaslt_init_deviceIaEv8ABC_dims24hipblaslt_initializationbPT_mmmmmEUlmE9_EvS4_mmT0_
	.p2align	8
	.type	_Z11fill_kernelIaZ21hipblaslt_init_deviceIaEv8ABC_dims24hipblaslt_initializationbPT_mmmmmEUlmE9_EvS4_mmT0_,@function
_Z11fill_kernelIaZ21hipblaslt_init_deviceIaEv8ABC_dims24hipblaslt_initializationbPT_mmmmmEUlmE9_EvS4_mmT0_: ; @_Z11fill_kernelIaZ21hipblaslt_init_deviceIaEv8ABC_dims24hipblaslt_initializationbPT_mmmmmEUlmE9_EvS4_mmT0_
; %bb.0:
	s_clause 0x1
	s_load_b32 s2, s[0:1], 0x2c
	s_load_b128 s[4:7], s[0:1], 0x0
	s_waitcnt lgkmcnt(0)
	s_and_b32 s2, s2, 0xffff
	s_delay_alu instid0(SALU_CYCLE_1) | instskip(SKIP_2) | instid1(VALU_DEP_1)
	v_mad_u64_u32 v[1:2], null, s15, s2, v[0:1]
	v_mov_b32_e32 v2, 0
	s_mov_b32 s2, exec_lo
	v_cmpx_gt_u64_e64 s[6:7], v[1:2]
	s_cbranch_execz .LBB109_6
; %bb.1:
	s_clause 0x1
	s_load_b64 s[2:3], s[0:1], 0x10
	s_load_b32 s0, s[0:1], 0x18
	s_waitcnt lgkmcnt(0)
	v_add_co_u32 v0, s1, v1, s2
	s_delay_alu instid0(VALU_DEP_1) | instskip(NEXT) | instid1(VALU_DEP_2)
	v_add_co_ci_u32_e64 v1, null, 0, s3, s1
	v_add_nc_u32_e32 v6, s0, v0
	s_mov_b32 s0, 0xb90ffb1d
	s_delay_alu instid0(VALU_DEP_1) | instid1(SALU_CYCLE_1)
	v_mad_u64_u32 v[2:3], null, v6, s0, 0xdc6d3ef
	v_mad_u64_u32 v[3:4], null, 0x10dcd, v6, 1
	s_mov_b32 s0, 0x6ab9d291
	s_delay_alu instid0(VALU_DEP_2) | instskip(NEXT) | instid1(VALU_DEP_2)
	v_lshrrev_b32_e32 v5, 2, v2
	v_lshlrev_b32_e32 v7, 4, v3
	s_delay_alu instid0(VALU_DEP_2) | instskip(SKIP_2) | instid1(VALU_DEP_2)
	v_xor_b32_e32 v2, v5, v2
	v_mad_u64_u32 v[4:5], null, v6, s0, 0xffffffffdfb3c992
	s_mov_b32 s0, exec_lo
	v_lshlrev_b32_e32 v5, 1, v2
	s_delay_alu instid0(VALU_DEP_2) | instskip(NEXT) | instid1(VALU_DEP_2)
	v_lshrrev_b32_e32 v8, 2, v4
	v_xor_b32_e32 v5, v7, v5
	s_delay_alu instid0(VALU_DEP_2) | instskip(NEXT) | instid1(VALU_DEP_2)
	v_xor_b32_e32 v7, v8, v4
	v_xor3_b32 v3, v5, v3, v2
                                        ; implicit-def: $vgpr5
	s_delay_alu instid0(VALU_DEP_2) | instskip(NEXT) | instid1(VALU_DEP_2)
	v_lshlrev_b32_e32 v2, 1, v7
	v_lshlrev_b32_e32 v4, 4, v3
	s_delay_alu instid0(VALU_DEP_1) | instskip(SKIP_1) | instid1(VALU_DEP_2)
	v_xor_b32_e32 v2, v2, v4
	v_xor_b32_e32 v4, 0x587c5, v6
                                        ; implicit-def: $vgpr6
	v_xor3_b32 v2, v2, v7, v3
	s_delay_alu instid0(VALU_DEP_1) | instskip(NEXT) | instid1(VALU_DEP_1)
	v_add3_u32 v2, v4, v2, 0xb0f8a
	v_cvt_f32_u32_e32 v2, v2
	s_delay_alu instid0(VALU_DEP_1) | instskip(NEXT) | instid1(VALU_DEP_1)
	v_mul_f32_e32 v2, 0x2f800000, v2
	v_mul_f32_e32 v2, 0x40c90fdb, v2
	s_delay_alu instid0(VALU_DEP_1)
	v_cmpx_ngt_f32_e32 0x48000000, v2
	s_xor_b32 s3, exec_lo, s0
	s_cbranch_execz .LBB109_3
; %bb.2:
	s_mov_b32 s0, 0x7fffff
	v_mov_b32_e32 v7, 0
	v_and_or_b32 v15, v2, s0, 0x800000
	v_lshrrev_b32_e32 v12, 23, v2
	s_delay_alu instid0(VALU_DEP_2) | instskip(NEXT) | instid1(VALU_DEP_2)
	v_mad_u64_u32 v[5:6], null, 0xfe5163ab, v15, 0
	v_add_nc_u32_e32 v13, 0xffffff88, v12
	s_delay_alu instid0(VALU_DEP_1) | instskip(NEXT) | instid1(VALU_DEP_3)
	v_cmp_lt_u32_e32 vcc_lo, 63, v13
	v_mad_u64_u32 v[8:9], null, 0x3c439041, v15, v[6:7]
	v_cndmask_b32_e64 v14, 0, 0xffffffc0, vcc_lo
	s_delay_alu instid0(VALU_DEP_2) | instskip(NEXT) | instid1(VALU_DEP_2)
	v_mov_b32_e32 v6, v9
	v_add_nc_u32_e32 v14, v14, v13
	s_delay_alu instid0(VALU_DEP_2) | instskip(NEXT) | instid1(VALU_DEP_2)
	v_mad_u64_u32 v[9:10], null, 0xdb629599, v15, v[6:7]
	v_cmp_lt_u32_e64 s0, 31, v14
	s_delay_alu instid0(VALU_DEP_1) | instskip(NEXT) | instid1(VALU_DEP_3)
	v_cndmask_b32_e64 v16, 0, 0xffffffe0, s0
	v_dual_mov_b32 v6, v10 :: v_dual_cndmask_b32 v5, v9, v5
	s_delay_alu instid0(VALU_DEP_2) | instskip(NEXT) | instid1(VALU_DEP_2)
	v_add_nc_u32_e32 v16, v16, v14
	v_mad_u64_u32 v[10:11], null, 0xf534ddc0, v15, v[6:7]
	s_delay_alu instid0(VALU_DEP_2) | instskip(NEXT) | instid1(VALU_DEP_2)
	v_cmp_lt_u32_e64 s1, 31, v16
	v_mov_b32_e32 v6, v11
	s_delay_alu instid0(VALU_DEP_3) | instskip(NEXT) | instid1(VALU_DEP_2)
	v_cndmask_b32_e32 v8, v10, v8, vcc_lo
	v_mad_u64_u32 v[11:12], null, 0xfc2757d1, v15, v[6:7]
	s_delay_alu instid0(VALU_DEP_2) | instskip(NEXT) | instid1(VALU_DEP_2)
	v_cndmask_b32_e64 v5, v8, v5, s0
	v_mov_b32_e32 v6, v12
	s_delay_alu instid0(VALU_DEP_1) | instskip(NEXT) | instid1(VALU_DEP_1)
	v_mad_u64_u32 v[12:13], null, 0x4e441529, v15, v[6:7]
	v_mov_b32_e32 v6, v13
	s_delay_alu instid0(VALU_DEP_1) | instskip(SKIP_1) | instid1(VALU_DEP_1)
	v_mad_u64_u32 v[13:14], null, 0xa2f9836e, v15, v[6:7]
	v_cndmask_b32_e64 v6, 0, 0xffffffe0, s1
	v_dual_cndmask_b32 v7, v12, v10 :: v_dual_add_nc_u32 v6, v6, v16
	s_delay_alu instid0(VALU_DEP_3) | instskip(NEXT) | instid1(VALU_DEP_4)
	v_cndmask_b32_e32 v13, v13, v11, vcc_lo
	v_dual_cndmask_b32 v11, v11, v9 :: v_dual_cndmask_b32 v12, v14, v12
	s_delay_alu instid0(VALU_DEP_3) | instskip(NEXT) | instid1(VALU_DEP_3)
	v_cmp_eq_u32_e64 s2, 0, v6
	v_cndmask_b32_e64 v10, v13, v7, s0
	s_delay_alu instid0(VALU_DEP_3) | instskip(NEXT) | instid1(VALU_DEP_4)
	v_cndmask_b32_e64 v7, v7, v11, s0
	v_cndmask_b32_e64 v12, v12, v13, s0
	v_sub_nc_u32_e32 v13, 32, v6
	v_cndmask_b32_e64 v11, v11, v8, s0
	s_delay_alu instid0(VALU_DEP_3) | instskip(SKIP_1) | instid1(VALU_DEP_3)
	v_cndmask_b32_e64 v12, v12, v10, s1
	v_cndmask_b32_e64 v10, v10, v7, s1
	;; [unrolled: 1-line block ×4, first 2 shown]
	s_delay_alu instid0(VALU_DEP_3) | instskip(NEXT) | instid1(VALU_DEP_3)
	v_alignbit_b32 v14, v12, v10, v13
	v_alignbit_b32 v15, v10, v7, v13
	s_delay_alu instid0(VALU_DEP_3) | instskip(NEXT) | instid1(VALU_DEP_3)
	v_alignbit_b32 v13, v7, v5, v13
	v_cndmask_b32_e64 v6, v14, v12, s2
	s_delay_alu instid0(VALU_DEP_3) | instskip(NEXT) | instid1(VALU_DEP_3)
	v_cndmask_b32_e64 v9, v15, v10, s2
	v_cndmask_b32_e64 v7, v13, v7, s2
	s_delay_alu instid0(VALU_DEP_3) | instskip(NEXT) | instid1(VALU_DEP_3)
	v_bfe_u32 v10, v6, 29, 1
	v_alignbit_b32 v8, v6, v9, 30
	s_delay_alu instid0(VALU_DEP_3) | instskip(SKIP_1) | instid1(VALU_DEP_4)
	v_alignbit_b32 v9, v9, v7, 30
	v_alignbit_b32 v5, v7, v5, 30
	v_sub_nc_u32_e32 v12, 0, v10
	s_delay_alu instid0(VALU_DEP_1) | instskip(SKIP_3) | instid1(VALU_DEP_4)
	v_xor_b32_e32 v11, v8, v12
	v_cmp_ne_u32_e32 vcc_lo, v8, v12
	v_xor_b32_e32 v7, v9, v12
	v_xor_b32_e32 v5, v5, v12
	v_clz_i32_u32_e32 v14, v11
	s_delay_alu instid0(VALU_DEP_1) | instskip(NEXT) | instid1(VALU_DEP_1)
	v_add_nc_u32_e32 v13, 1, v14
	v_cndmask_b32_e32 v8, 33, v13, vcc_lo
	s_delay_alu instid0(VALU_DEP_1) | instskip(NEXT) | instid1(VALU_DEP_1)
	v_sub_nc_u32_e32 v9, 32, v8
	v_alignbit_b32 v11, v11, v7, v9
	v_alignbit_b32 v5, v7, v5, v9
	v_lshrrev_b32_e32 v7, 29, v6
	v_lshrrev_b32_e32 v6, 30, v6
	s_delay_alu instid0(VALU_DEP_3) | instskip(NEXT) | instid1(VALU_DEP_3)
	v_alignbit_b32 v9, v11, v5, 9
	v_lshlrev_b32_e32 v7, 31, v7
	v_alignbit_b32 v11, v8, v11, 9
	s_delay_alu instid0(VALU_DEP_4) | instskip(NEXT) | instid1(VALU_DEP_4)
	v_add_nc_u32_e32 v6, v10, v6
	v_clz_i32_u32_e32 v12, v9
	s_delay_alu instid0(VALU_DEP_3) | instskip(SKIP_1) | instid1(VALU_DEP_3)
	v_or_b32_e32 v11, v11, v7
	v_or_b32_e32 v7, 0x33800000, v7
	v_min_u32_e32 v12, 32, v12
	s_delay_alu instid0(VALU_DEP_3) | instskip(NEXT) | instid1(VALU_DEP_2)
	v_xor_b32_e32 v11, 1.0, v11
	v_sub_nc_u32_e32 v13, 31, v12
	v_add_lshl_u32 v8, v12, v8, 23
	s_delay_alu instid0(VALU_DEP_3) | instskip(NEXT) | instid1(VALU_DEP_3)
	v_mul_f32_e32 v12, 0x3fc90fda, v11
	v_alignbit_b32 v5, v9, v5, v13
	s_delay_alu instid0(VALU_DEP_3) | instskip(NEXT) | instid1(VALU_DEP_3)
	v_sub_nc_u32_e32 v7, v7, v8
	v_fma_f32 v8, 0x3fc90fda, v11, -v12
	s_delay_alu instid0(VALU_DEP_3) | instskip(NEXT) | instid1(VALU_DEP_2)
	v_lshrrev_b32_e32 v5, 9, v5
	v_fmamk_f32 v8, v11, 0x33a22168, v8
	s_delay_alu instid0(VALU_DEP_2) | instskip(NEXT) | instid1(VALU_DEP_1)
	v_or_b32_e32 v5, v7, v5
	v_fmac_f32_e32 v8, 0x3fc90fda, v5
	s_delay_alu instid0(VALU_DEP_1)
	v_add_f32_e32 v5, v12, v8
.LBB109_3:
	s_and_not1_saveexec_b32 s0, s3
; %bb.4:
	v_mul_f32_e32 v5, 0x3f22f983, v2
	s_delay_alu instid0(VALU_DEP_1) | instskip(NEXT) | instid1(VALU_DEP_1)
	v_rndne_f32_e32 v6, v5
	v_fmamk_f32 v5, v6, 0xbfc90fda, v2
	s_delay_alu instid0(VALU_DEP_1) | instskip(NEXT) | instid1(VALU_DEP_1)
	v_fmamk_f32 v5, v6, 0xb3a22168, v5
	v_fmamk_f32 v5, v6, 0xa7c234c4, v5
	v_cvt_i32_f32_e32 v6, v6
; %bb.5:
	s_or_b32 exec_lo, exec_lo, s0
	v_add3_u32 v3, v4, v3, 0x587c5
	s_delay_alu instid0(VALU_DEP_2) | instskip(SKIP_4) | instid1(VALU_DEP_2)
	v_and_b32_e32 v13, 1, v6
	s_mov_b32 s0, 0xb94c1982
	s_mov_b32 s1, 0x37d75334
	v_lshlrev_b32_e32 v6, 30, v6
	v_cvt_f32_u32_e32 v3, v3
	v_and_b32_e32 v6, 0x80000000, v6
	s_delay_alu instid0(VALU_DEP_2) | instskip(NEXT) | instid1(VALU_DEP_1)
	v_mul_f32_e32 v3, 0x2f800000, v3
	v_cmp_ngt_f32_e32 vcc_lo, 0x2edbe6ff, v3
	v_cndmask_b32_e32 v3, 0x2edbe6ff, v3, vcc_lo
	s_delay_alu instid0(VALU_DEP_1) | instskip(SKIP_1) | instid1(VALU_DEP_1)
	v_cmp_gt_f32_e32 vcc_lo, 0x800000, v3
	v_cndmask_b32_e64 v4, 1.0, 0x4f800000, vcc_lo
	v_mul_f32_e32 v3, v3, v4
	s_delay_alu instid0(VALU_DEP_1) | instskip(SKIP_2) | instid1(VALU_DEP_1)
	v_log_f32_e32 v3, v3
	s_waitcnt_depctr 0xfff
	v_mul_f32_e32 v4, 0x3f317217, v3
	v_fma_f32 v7, 0x3f317217, v3, -v4
	s_delay_alu instid0(VALU_DEP_1) | instskip(NEXT) | instid1(VALU_DEP_1)
	v_fmamk_f32 v7, v3, 0x3377d1cf, v7
	v_add_f32_e32 v4, v4, v7
	v_cndmask_b32_e64 v7, 0, 0x41b17218, vcc_lo
	v_cmp_gt_f32_e64 vcc_lo, 0x7f800000, |v3|
	s_delay_alu instid0(VALU_DEP_3) | instskip(NEXT) | instid1(VALU_DEP_1)
	v_cndmask_b32_e32 v3, v3, v4, vcc_lo
	v_sub_f32_e32 v3, v3, v7
	v_mul_f32_e32 v7, v5, v5
	s_delay_alu instid0(VALU_DEP_1) | instskip(NEXT) | instid1(VALU_DEP_3)
	v_fmaak_f32 v8, s0, v7, 0x3c0881c4
	v_mul_f32_e32 v3, -2.0, v3
	v_fmaak_f32 v9, s1, v7, 0xbab64f3b
	s_delay_alu instid0(VALU_DEP_3) | instskip(NEXT) | instid1(VALU_DEP_3)
	v_fmaak_f32 v8, v7, v8, 0xbe2aaa9d
	v_cmp_gt_f32_e32 vcc_lo, 0xf800000, v3
	s_delay_alu instid0(VALU_DEP_3) | instskip(NEXT) | instid1(VALU_DEP_3)
	v_fmaak_f32 v9, v7, v9, 0x3d2aabf7
	v_mul_f32_e32 v8, v7, v8
	v_mul_f32_e32 v4, 0x4f800000, v3
	s_delay_alu instid0(VALU_DEP_3) | instskip(NEXT) | instid1(VALU_DEP_3)
	v_fmaak_f32 v9, v7, v9, 0xbf000004
	v_fmac_f32_e32 v5, v5, v8
	s_delay_alu instid0(VALU_DEP_3) | instskip(NEXT) | instid1(VALU_DEP_3)
	v_cndmask_b32_e32 v3, v3, v4, vcc_lo
	v_fma_f32 v7, v7, v9, 1.0
	s_delay_alu instid0(VALU_DEP_2) | instskip(SKIP_3) | instid1(VALU_DEP_2)
	v_sqrt_f32_e32 v4, v3
	s_waitcnt_depctr 0xfff
	v_add_nc_u32_e32 v10, -1, v4
	v_add_nc_u32_e32 v11, 1, v4
	v_fma_f32 v12, -v10, v4, v3
	s_delay_alu instid0(VALU_DEP_2) | instskip(NEXT) | instid1(VALU_DEP_2)
	v_fma_f32 v14, -v11, v4, v3
	v_cmp_ge_f32_e64 s0, 0, v12
	s_delay_alu instid0(VALU_DEP_1) | instskip(NEXT) | instid1(VALU_DEP_3)
	v_cndmask_b32_e64 v4, v4, v10, s0
	v_cmp_lt_f32_e64 s0, 0, v14
	s_delay_alu instid0(VALU_DEP_1) | instskip(SKIP_1) | instid1(VALU_DEP_1)
	v_cndmask_b32_e64 v4, v4, v11, s0
	v_cmp_eq_u32_e64 s0, 0, v13
	v_cndmask_b32_e64 v5, -v5, v7, s0
	s_delay_alu instid0(VALU_DEP_3) | instskip(NEXT) | instid1(VALU_DEP_2)
	v_mul_f32_e32 v7, 0x37800000, v4
	v_xor_b32_e32 v5, v6, v5
	s_delay_alu instid0(VALU_DEP_2) | instskip(SKIP_1) | instid1(VALU_DEP_3)
	v_cndmask_b32_e32 v4, v4, v7, vcc_lo
	v_cmp_lg_f32_e32 vcc_lo, 0x7f800000, v2
	v_cndmask_b32_e32 v2, 0x7fc00000, v5, vcc_lo
	v_cmp_class_f32_e64 vcc_lo, v3, 0x260
	s_delay_alu instid0(VALU_DEP_4) | instskip(SKIP_2) | instid1(VALU_DEP_3)
	v_cndmask_b32_e32 v3, v4, v3, vcc_lo
	v_add_co_u32 v0, vcc_lo, s4, v0
	v_add_co_ci_u32_e32 v1, vcc_lo, s5, v1, vcc_lo
	v_mul_f32_e32 v2, v3, v2
	s_delay_alu instid0(VALU_DEP_1)
	v_cvt_i32_f32_e32 v2, v2
	global_store_b8 v[0:1], v2, off
.LBB109_6:
	s_nop 0
	s_sendmsg sendmsg(MSG_DEALLOC_VGPRS)
	s_endpgm
	.section	.rodata,"a",@progbits
	.p2align	6, 0x0
	.amdhsa_kernel _Z11fill_kernelIaZ21hipblaslt_init_deviceIaEv8ABC_dims24hipblaslt_initializationbPT_mmmmmEUlmE9_EvS4_mmT0_
		.amdhsa_group_segment_fixed_size 0
		.amdhsa_private_segment_fixed_size 0
		.amdhsa_kernarg_size 288
		.amdhsa_user_sgpr_count 15
		.amdhsa_user_sgpr_dispatch_ptr 0
		.amdhsa_user_sgpr_queue_ptr 0
		.amdhsa_user_sgpr_kernarg_segment_ptr 1
		.amdhsa_user_sgpr_dispatch_id 0
		.amdhsa_user_sgpr_private_segment_size 0
		.amdhsa_wavefront_size32 1
		.amdhsa_uses_dynamic_stack 0
		.amdhsa_enable_private_segment 0
		.amdhsa_system_sgpr_workgroup_id_x 1
		.amdhsa_system_sgpr_workgroup_id_y 0
		.amdhsa_system_sgpr_workgroup_id_z 0
		.amdhsa_system_sgpr_workgroup_info 0
		.amdhsa_system_vgpr_workitem_id 0
		.amdhsa_next_free_vgpr 17
		.amdhsa_next_free_sgpr 16
		.amdhsa_reserve_vcc 1
		.amdhsa_float_round_mode_32 0
		.amdhsa_float_round_mode_16_64 0
		.amdhsa_float_denorm_mode_32 3
		.amdhsa_float_denorm_mode_16_64 3
		.amdhsa_dx10_clamp 1
		.amdhsa_ieee_mode 1
		.amdhsa_fp16_overflow 0
		.amdhsa_workgroup_processor_mode 1
		.amdhsa_memory_ordered 1
		.amdhsa_forward_progress 0
		.amdhsa_shared_vgpr_count 0
		.amdhsa_exception_fp_ieee_invalid_op 0
		.amdhsa_exception_fp_denorm_src 0
		.amdhsa_exception_fp_ieee_div_zero 0
		.amdhsa_exception_fp_ieee_overflow 0
		.amdhsa_exception_fp_ieee_underflow 0
		.amdhsa_exception_fp_ieee_inexact 0
		.amdhsa_exception_int_div_zero 0
	.end_amdhsa_kernel
	.section	.text._Z11fill_kernelIaZ21hipblaslt_init_deviceIaEv8ABC_dims24hipblaslt_initializationbPT_mmmmmEUlmE9_EvS4_mmT0_,"axG",@progbits,_Z11fill_kernelIaZ21hipblaslt_init_deviceIaEv8ABC_dims24hipblaslt_initializationbPT_mmmmmEUlmE9_EvS4_mmT0_,comdat
.Lfunc_end109:
	.size	_Z11fill_kernelIaZ21hipblaslt_init_deviceIaEv8ABC_dims24hipblaslt_initializationbPT_mmmmmEUlmE9_EvS4_mmT0_, .Lfunc_end109-_Z11fill_kernelIaZ21hipblaslt_init_deviceIaEv8ABC_dims24hipblaslt_initializationbPT_mmmmmEUlmE9_EvS4_mmT0_
                                        ; -- End function
	.section	.AMDGPU.csdata,"",@progbits
; Kernel info:
; codeLenInByte = 1576
; NumSgprs: 18
; NumVgprs: 17
; ScratchSize: 0
; MemoryBound: 0
; FloatMode: 240
; IeeeMode: 1
; LDSByteSize: 0 bytes/workgroup (compile time only)
; SGPRBlocks: 2
; VGPRBlocks: 2
; NumSGPRsForWavesPerEU: 18
; NumVGPRsForWavesPerEU: 17
; Occupancy: 16
; WaveLimiterHint : 0
; COMPUTE_PGM_RSRC2:SCRATCH_EN: 0
; COMPUTE_PGM_RSRC2:USER_SGPR: 15
; COMPUTE_PGM_RSRC2:TRAP_HANDLER: 0
; COMPUTE_PGM_RSRC2:TGID_X_EN: 1
; COMPUTE_PGM_RSRC2:TGID_Y_EN: 0
; COMPUTE_PGM_RSRC2:TGID_Z_EN: 0
; COMPUTE_PGM_RSRC2:TIDIG_COMP_CNT: 0
	.text
	.p2alignl 7, 3214868480
	.fill 96, 4, 3214868480
	.type	__hip_cuid_c085fef9ba11c613,@object ; @__hip_cuid_c085fef9ba11c613
	.section	.bss,"aw",@nobits
	.globl	__hip_cuid_c085fef9ba11c613
__hip_cuid_c085fef9ba11c613:
	.byte	0                               ; 0x0
	.size	__hip_cuid_c085fef9ba11c613, 1

	.ident	"AMD clang version 19.0.0git (https://github.com/RadeonOpenCompute/llvm-project roc-6.4.0 25133 c7fe45cf4b819c5991fe208aaa96edf142730f1d)"
	.section	".note.GNU-stack","",@progbits
	.addrsig
	.addrsig_sym __hip_cuid_c085fef9ba11c613
	.amdgpu_metadata
---
amdhsa.kernels:
  - .args:
      - .address_space:  global
        .offset:         0
        .size:           8
        .value_kind:     global_buffer
      - .offset:         8
        .size:           8
        .value_kind:     by_value
      - .offset:         16
        .size:           8
        .value_kind:     by_value
      - .offset:         24
        .size:           400
        .value_kind:     by_value
      - .offset:         424
        .size:           4
        .value_kind:     hidden_block_count_x
      - .offset:         428
        .size:           4
        .value_kind:     hidden_block_count_y
      - .offset:         432
        .size:           4
        .value_kind:     hidden_block_count_z
      - .offset:         436
        .size:           2
        .value_kind:     hidden_group_size_x
      - .offset:         438
        .size:           2
        .value_kind:     hidden_group_size_y
      - .offset:         440
        .size:           2
        .value_kind:     hidden_group_size_z
      - .offset:         442
        .size:           2
        .value_kind:     hidden_remainder_x
      - .offset:         444
        .size:           2
        .value_kind:     hidden_remainder_y
      - .offset:         446
        .size:           2
        .value_kind:     hidden_remainder_z
      - .offset:         464
        .size:           8
        .value_kind:     hidden_global_offset_x
      - .offset:         472
        .size:           8
        .value_kind:     hidden_global_offset_y
      - .offset:         480
        .size:           8
        .value_kind:     hidden_global_offset_z
      - .offset:         488
        .size:           2
        .value_kind:     hidden_grid_dims
    .group_segment_fixed_size: 0
    .kernarg_segment_align: 8
    .kernarg_segment_size: 680
    .language:       OpenCL C
    .language_version:
      - 2
      - 0
    .max_flat_workgroup_size: 1024
    .name:           _Z11fill_kernelIfZ21hipblaslt_init_deviceIfEv8ABC_dims24hipblaslt_initializationbPT_mmmmmEUlmE_EvS4_mmT0_
    .private_segment_fixed_size: 0
    .sgpr_count:     18
    .sgpr_spill_count: 0
    .symbol:         _Z11fill_kernelIfZ21hipblaslt_init_deviceIfEv8ABC_dims24hipblaslt_initializationbPT_mmmmmEUlmE_EvS4_mmT0_.kd
    .uniform_work_group_size: 1
    .uses_dynamic_stack: false
    .vgpr_count:     6
    .vgpr_spill_count: 0
    .wavefront_size: 32
    .workgroup_processor_mode: 1
  - .args:
      - .address_space:  global
        .offset:         0
        .size:           8
        .value_kind:     global_buffer
      - .offset:         8
        .size:           8
        .value_kind:     by_value
      - .offset:         16
        .size:           8
        .value_kind:     by_value
      - .offset:         24
        .size:           1
        .value_kind:     by_value
      - .offset:         32
        .size:           4
        .value_kind:     hidden_block_count_x
      - .offset:         36
        .size:           4
        .value_kind:     hidden_block_count_y
      - .offset:         40
        .size:           4
        .value_kind:     hidden_block_count_z
      - .offset:         44
        .size:           2
        .value_kind:     hidden_group_size_x
      - .offset:         46
        .size:           2
        .value_kind:     hidden_group_size_y
      - .offset:         48
        .size:           2
        .value_kind:     hidden_group_size_z
      - .offset:         50
        .size:           2
        .value_kind:     hidden_remainder_x
      - .offset:         52
        .size:           2
        .value_kind:     hidden_remainder_y
      - .offset:         54
        .size:           2
        .value_kind:     hidden_remainder_z
      - .offset:         72
        .size:           8
        .value_kind:     hidden_global_offset_x
      - .offset:         80
        .size:           8
        .value_kind:     hidden_global_offset_y
      - .offset:         88
        .size:           8
        .value_kind:     hidden_global_offset_z
      - .offset:         96
        .size:           2
        .value_kind:     hidden_grid_dims
    .group_segment_fixed_size: 0
    .kernarg_segment_align: 8
    .kernarg_segment_size: 288
    .language:       OpenCL C
    .language_version:
      - 2
      - 0
    .max_flat_workgroup_size: 1024
    .name:           _Z11fill_kernelIfZ21hipblaslt_init_deviceIfEv8ABC_dims24hipblaslt_initializationbPT_mmmmmEUlmE0_EvS4_mmT0_
    .private_segment_fixed_size: 0
    .sgpr_count:     18
    .sgpr_spill_count: 0
    .symbol:         _Z11fill_kernelIfZ21hipblaslt_init_deviceIfEv8ABC_dims24hipblaslt_initializationbPT_mmmmmEUlmE0_EvS4_mmT0_.kd
    .uniform_work_group_size: 1
    .uses_dynamic_stack: false
    .vgpr_count:     6
    .vgpr_spill_count: 0
    .wavefront_size: 32
    .workgroup_processor_mode: 1
  - .args:
      - .address_space:  global
        .offset:         0
        .size:           8
        .value_kind:     global_buffer
      - .offset:         8
        .size:           8
        .value_kind:     by_value
      - .offset:         16
        .size:           8
        .value_kind:     by_value
      - .offset:         24
        .size:           16
        .value_kind:     by_value
      - .offset:         40
        .size:           4
        .value_kind:     hidden_block_count_x
      - .offset:         44
        .size:           4
        .value_kind:     hidden_block_count_y
      - .offset:         48
        .size:           4
        .value_kind:     hidden_block_count_z
      - .offset:         52
        .size:           2
        .value_kind:     hidden_group_size_x
      - .offset:         54
        .size:           2
        .value_kind:     hidden_group_size_y
      - .offset:         56
        .size:           2
        .value_kind:     hidden_group_size_z
      - .offset:         58
        .size:           2
        .value_kind:     hidden_remainder_x
      - .offset:         60
        .size:           2
        .value_kind:     hidden_remainder_y
      - .offset:         62
        .size:           2
        .value_kind:     hidden_remainder_z
      - .offset:         80
        .size:           8
        .value_kind:     hidden_global_offset_x
      - .offset:         88
        .size:           8
        .value_kind:     hidden_global_offset_y
      - .offset:         96
        .size:           8
        .value_kind:     hidden_global_offset_z
      - .offset:         104
        .size:           2
        .value_kind:     hidden_grid_dims
    .group_segment_fixed_size: 0
    .kernarg_segment_align: 8
    .kernarg_segment_size: 296
    .language:       OpenCL C
    .language_version:
      - 2
      - 0
    .max_flat_workgroup_size: 1024
    .name:           _Z11fill_kernelIfZ21hipblaslt_init_deviceIfEv8ABC_dims24hipblaslt_initializationbPT_mmmmmEUlmE1_EvS4_mmT0_
    .private_segment_fixed_size: 0
    .sgpr_count:     18
    .sgpr_spill_count: 0
    .symbol:         _Z11fill_kernelIfZ21hipblaslt_init_deviceIfEv8ABC_dims24hipblaslt_initializationbPT_mmmmmEUlmE1_EvS4_mmT0_.kd
    .uniform_work_group_size: 1
    .uses_dynamic_stack: false
    .vgpr_count:     13
    .vgpr_spill_count: 0
    .wavefront_size: 32
    .workgroup_processor_mode: 1
  - .args:
      - .address_space:  global
        .offset:         0
        .size:           8
        .value_kind:     global_buffer
      - .offset:         8
        .size:           8
        .value_kind:     by_value
      - .offset:         16
        .size:           8
        .value_kind:     by_value
      - .offset:         24
        .size:           32
        .value_kind:     by_value
      - .offset:         56
        .size:           4
        .value_kind:     hidden_block_count_x
      - .offset:         60
        .size:           4
        .value_kind:     hidden_block_count_y
      - .offset:         64
        .size:           4
        .value_kind:     hidden_block_count_z
      - .offset:         68
        .size:           2
        .value_kind:     hidden_group_size_x
      - .offset:         70
        .size:           2
        .value_kind:     hidden_group_size_y
      - .offset:         72
        .size:           2
        .value_kind:     hidden_group_size_z
      - .offset:         74
        .size:           2
        .value_kind:     hidden_remainder_x
      - .offset:         76
        .size:           2
        .value_kind:     hidden_remainder_y
      - .offset:         78
        .size:           2
        .value_kind:     hidden_remainder_z
      - .offset:         96
        .size:           8
        .value_kind:     hidden_global_offset_x
      - .offset:         104
        .size:           8
        .value_kind:     hidden_global_offset_y
      - .offset:         112
        .size:           8
        .value_kind:     hidden_global_offset_z
      - .offset:         120
        .size:           2
        .value_kind:     hidden_grid_dims
    .group_segment_fixed_size: 0
    .kernarg_segment_align: 8
    .kernarg_segment_size: 312
    .language:       OpenCL C
    .language_version:
      - 2
      - 0
    .max_flat_workgroup_size: 1024
    .name:           _Z11fill_kernelIfZ21hipblaslt_init_deviceIfEv8ABC_dims24hipblaslt_initializationbPT_mmmmmEUlmE2_EvS4_mmT0_
    .private_segment_fixed_size: 0
    .sgpr_count:     22
    .sgpr_spill_count: 0
    .symbol:         _Z11fill_kernelIfZ21hipblaslt_init_deviceIfEv8ABC_dims24hipblaslt_initializationbPT_mmmmmEUlmE2_EvS4_mmT0_.kd
    .uniform_work_group_size: 1
    .uses_dynamic_stack: false
    .vgpr_count:     33
    .vgpr_spill_count: 0
    .wavefront_size: 32
    .workgroup_processor_mode: 1
  - .args:
      - .address_space:  global
        .offset:         0
        .size:           8
        .value_kind:     global_buffer
      - .offset:         8
        .size:           8
        .value_kind:     by_value
      - .offset:         16
        .size:           8
        .value_kind:     by_value
      - .offset:         24
        .size:           32
        .value_kind:     by_value
      - .offset:         56
        .size:           4
        .value_kind:     hidden_block_count_x
      - .offset:         60
        .size:           4
        .value_kind:     hidden_block_count_y
      - .offset:         64
        .size:           4
        .value_kind:     hidden_block_count_z
      - .offset:         68
        .size:           2
        .value_kind:     hidden_group_size_x
      - .offset:         70
        .size:           2
        .value_kind:     hidden_group_size_y
      - .offset:         72
        .size:           2
        .value_kind:     hidden_group_size_z
      - .offset:         74
        .size:           2
        .value_kind:     hidden_remainder_x
      - .offset:         76
        .size:           2
        .value_kind:     hidden_remainder_y
      - .offset:         78
        .size:           2
        .value_kind:     hidden_remainder_z
      - .offset:         96
        .size:           8
        .value_kind:     hidden_global_offset_x
      - .offset:         104
        .size:           8
        .value_kind:     hidden_global_offset_y
      - .offset:         112
        .size:           8
        .value_kind:     hidden_global_offset_z
      - .offset:         120
        .size:           2
        .value_kind:     hidden_grid_dims
    .group_segment_fixed_size: 0
    .kernarg_segment_align: 8
    .kernarg_segment_size: 312
    .language:       OpenCL C
    .language_version:
      - 2
      - 0
    .max_flat_workgroup_size: 1024
    .name:           _Z11fill_kernelIfZ21hipblaslt_init_deviceIfEv8ABC_dims24hipblaslt_initializationbPT_mmmmmEUlmE3_EvS4_mmT0_
    .private_segment_fixed_size: 0
    .sgpr_count:     22
    .sgpr_spill_count: 0
    .symbol:         _Z11fill_kernelIfZ21hipblaslt_init_deviceIfEv8ABC_dims24hipblaslt_initializationbPT_mmmmmEUlmE3_EvS4_mmT0_.kd
    .uniform_work_group_size: 1
    .uses_dynamic_stack: false
    .vgpr_count:     33
    .vgpr_spill_count: 0
    .wavefront_size: 32
    .workgroup_processor_mode: 1
  - .args:
      - .address_space:  global
        .offset:         0
        .size:           8
        .value_kind:     global_buffer
      - .offset:         8
        .size:           8
        .value_kind:     by_value
      - .offset:         16
        .size:           8
        .value_kind:     by_value
      - .offset:         24
        .size:           1
        .value_kind:     by_value
      - .offset:         32
        .size:           4
        .value_kind:     hidden_block_count_x
      - .offset:         36
        .size:           4
        .value_kind:     hidden_block_count_y
      - .offset:         40
        .size:           4
        .value_kind:     hidden_block_count_z
      - .offset:         44
        .size:           2
        .value_kind:     hidden_group_size_x
      - .offset:         46
        .size:           2
        .value_kind:     hidden_group_size_y
      - .offset:         48
        .size:           2
        .value_kind:     hidden_group_size_z
      - .offset:         50
        .size:           2
        .value_kind:     hidden_remainder_x
      - .offset:         52
        .size:           2
        .value_kind:     hidden_remainder_y
      - .offset:         54
        .size:           2
        .value_kind:     hidden_remainder_z
      - .offset:         72
        .size:           8
        .value_kind:     hidden_global_offset_x
      - .offset:         80
        .size:           8
        .value_kind:     hidden_global_offset_y
      - .offset:         88
        .size:           8
        .value_kind:     hidden_global_offset_z
      - .offset:         96
        .size:           2
        .value_kind:     hidden_grid_dims
    .group_segment_fixed_size: 0
    .kernarg_segment_align: 8
    .kernarg_segment_size: 288
    .language:       OpenCL C
    .language_version:
      - 2
      - 0
    .max_flat_workgroup_size: 1024
    .name:           _Z11fill_kernelIfZ21hipblaslt_init_deviceIfEv8ABC_dims24hipblaslt_initializationbPT_mmmmmEUlmE4_EvS4_mmT0_
    .private_segment_fixed_size: 0
    .sgpr_count:     18
    .sgpr_spill_count: 0
    .symbol:         _Z11fill_kernelIfZ21hipblaslt_init_deviceIfEv8ABC_dims24hipblaslt_initializationbPT_mmmmmEUlmE4_EvS4_mmT0_.kd
    .uniform_work_group_size: 1
    .uses_dynamic_stack: false
    .vgpr_count:     12
    .vgpr_spill_count: 0
    .wavefront_size: 32
    .workgroup_processor_mode: 1
  - .args:
      - .address_space:  global
        .offset:         0
        .size:           8
        .value_kind:     global_buffer
      - .offset:         8
        .size:           8
        .value_kind:     by_value
      - .offset:         16
        .size:           8
        .value_kind:     by_value
      - .offset:         24
        .size:           1
        .value_kind:     by_value
      - .offset:         32
        .size:           4
        .value_kind:     hidden_block_count_x
      - .offset:         36
        .size:           4
        .value_kind:     hidden_block_count_y
      - .offset:         40
        .size:           4
        .value_kind:     hidden_block_count_z
      - .offset:         44
        .size:           2
        .value_kind:     hidden_group_size_x
      - .offset:         46
        .size:           2
        .value_kind:     hidden_group_size_y
      - .offset:         48
        .size:           2
        .value_kind:     hidden_group_size_z
      - .offset:         50
        .size:           2
        .value_kind:     hidden_remainder_x
      - .offset:         52
        .size:           2
        .value_kind:     hidden_remainder_y
      - .offset:         54
        .size:           2
        .value_kind:     hidden_remainder_z
      - .offset:         72
        .size:           8
        .value_kind:     hidden_global_offset_x
      - .offset:         80
        .size:           8
        .value_kind:     hidden_global_offset_y
      - .offset:         88
        .size:           8
        .value_kind:     hidden_global_offset_z
      - .offset:         96
        .size:           2
        .value_kind:     hidden_grid_dims
    .group_segment_fixed_size: 0
    .kernarg_segment_align: 8
    .kernarg_segment_size: 288
    .language:       OpenCL C
    .language_version:
      - 2
      - 0
    .max_flat_workgroup_size: 1024
    .name:           _Z11fill_kernelIfZ21hipblaslt_init_deviceIfEv8ABC_dims24hipblaslt_initializationbPT_mmmmmEUlmE5_EvS4_mmT0_
    .private_segment_fixed_size: 0
    .sgpr_count:     18
    .sgpr_spill_count: 0
    .symbol:         _Z11fill_kernelIfZ21hipblaslt_init_deviceIfEv8ABC_dims24hipblaslt_initializationbPT_mmmmmEUlmE5_EvS4_mmT0_.kd
    .uniform_work_group_size: 1
    .uses_dynamic_stack: false
    .vgpr_count:     3
    .vgpr_spill_count: 0
    .wavefront_size: 32
    .workgroup_processor_mode: 1
  - .args:
      - .address_space:  global
        .offset:         0
        .size:           8
        .value_kind:     global_buffer
      - .offset:         8
        .size:           8
        .value_kind:     by_value
      - .offset:         16
        .size:           8
        .value_kind:     by_value
      - .offset:         24
        .size:           1
        .value_kind:     by_value
      - .offset:         32
        .size:           4
        .value_kind:     hidden_block_count_x
      - .offset:         36
        .size:           4
        .value_kind:     hidden_block_count_y
      - .offset:         40
        .size:           4
        .value_kind:     hidden_block_count_z
      - .offset:         44
        .size:           2
        .value_kind:     hidden_group_size_x
      - .offset:         46
        .size:           2
        .value_kind:     hidden_group_size_y
      - .offset:         48
        .size:           2
        .value_kind:     hidden_group_size_z
      - .offset:         50
        .size:           2
        .value_kind:     hidden_remainder_x
      - .offset:         52
        .size:           2
        .value_kind:     hidden_remainder_y
      - .offset:         54
        .size:           2
        .value_kind:     hidden_remainder_z
      - .offset:         72
        .size:           8
        .value_kind:     hidden_global_offset_x
      - .offset:         80
        .size:           8
        .value_kind:     hidden_global_offset_y
      - .offset:         88
        .size:           8
        .value_kind:     hidden_global_offset_z
      - .offset:         96
        .size:           2
        .value_kind:     hidden_grid_dims
    .group_segment_fixed_size: 0
    .kernarg_segment_align: 8
    .kernarg_segment_size: 288
    .language:       OpenCL C
    .language_version:
      - 2
      - 0
    .max_flat_workgroup_size: 1024
    .name:           _Z11fill_kernelIfZ21hipblaslt_init_deviceIfEv8ABC_dims24hipblaslt_initializationbPT_mmmmmEUlmE6_EvS4_mmT0_
    .private_segment_fixed_size: 0
    .sgpr_count:     18
    .sgpr_spill_count: 0
    .symbol:         _Z11fill_kernelIfZ21hipblaslt_init_deviceIfEv8ABC_dims24hipblaslt_initializationbPT_mmmmmEUlmE6_EvS4_mmT0_.kd
    .uniform_work_group_size: 1
    .uses_dynamic_stack: false
    .vgpr_count:     3
    .vgpr_spill_count: 0
    .wavefront_size: 32
    .workgroup_processor_mode: 1
  - .args:
      - .address_space:  global
        .offset:         0
        .size:           8
        .value_kind:     global_buffer
      - .offset:         8
        .size:           8
        .value_kind:     by_value
      - .offset:         16
        .size:           8
        .value_kind:     by_value
      - .offset:         24
        .size:           1
        .value_kind:     by_value
      - .offset:         32
        .size:           4
        .value_kind:     hidden_block_count_x
      - .offset:         36
        .size:           4
        .value_kind:     hidden_block_count_y
      - .offset:         40
        .size:           4
        .value_kind:     hidden_block_count_z
      - .offset:         44
        .size:           2
        .value_kind:     hidden_group_size_x
      - .offset:         46
        .size:           2
        .value_kind:     hidden_group_size_y
      - .offset:         48
        .size:           2
        .value_kind:     hidden_group_size_z
      - .offset:         50
        .size:           2
        .value_kind:     hidden_remainder_x
      - .offset:         52
        .size:           2
        .value_kind:     hidden_remainder_y
      - .offset:         54
        .size:           2
        .value_kind:     hidden_remainder_z
      - .offset:         72
        .size:           8
        .value_kind:     hidden_global_offset_x
      - .offset:         80
        .size:           8
        .value_kind:     hidden_global_offset_y
      - .offset:         88
        .size:           8
        .value_kind:     hidden_global_offset_z
      - .offset:         96
        .size:           2
        .value_kind:     hidden_grid_dims
    .group_segment_fixed_size: 0
    .kernarg_segment_align: 8
    .kernarg_segment_size: 288
    .language:       OpenCL C
    .language_version:
      - 2
      - 0
    .max_flat_workgroup_size: 1024
    .name:           _Z11fill_kernelIfZ21hipblaslt_init_deviceIfEv8ABC_dims24hipblaslt_initializationbPT_mmmmmEUlmE7_EvS4_mmT0_
    .private_segment_fixed_size: 0
    .sgpr_count:     18
    .sgpr_spill_count: 0
    .symbol:         _Z11fill_kernelIfZ21hipblaslt_init_deviceIfEv8ABC_dims24hipblaslt_initializationbPT_mmmmmEUlmE7_EvS4_mmT0_.kd
    .uniform_work_group_size: 1
    .uses_dynamic_stack: false
    .vgpr_count:     6
    .vgpr_spill_count: 0
    .wavefront_size: 32
    .workgroup_processor_mode: 1
  - .args:
      - .address_space:  global
        .offset:         0
        .size:           8
        .value_kind:     global_buffer
      - .offset:         8
        .size:           8
        .value_kind:     by_value
      - .offset:         16
        .size:           8
        .value_kind:     by_value
      - .offset:         24
        .size:           1
        .value_kind:     by_value
      - .offset:         32
        .size:           4
        .value_kind:     hidden_block_count_x
      - .offset:         36
        .size:           4
        .value_kind:     hidden_block_count_y
      - .offset:         40
        .size:           4
        .value_kind:     hidden_block_count_z
      - .offset:         44
        .size:           2
        .value_kind:     hidden_group_size_x
      - .offset:         46
        .size:           2
        .value_kind:     hidden_group_size_y
      - .offset:         48
        .size:           2
        .value_kind:     hidden_group_size_z
      - .offset:         50
        .size:           2
        .value_kind:     hidden_remainder_x
      - .offset:         52
        .size:           2
        .value_kind:     hidden_remainder_y
      - .offset:         54
        .size:           2
        .value_kind:     hidden_remainder_z
      - .offset:         72
        .size:           8
        .value_kind:     hidden_global_offset_x
      - .offset:         80
        .size:           8
        .value_kind:     hidden_global_offset_y
      - .offset:         88
        .size:           8
        .value_kind:     hidden_global_offset_z
      - .offset:         96
        .size:           2
        .value_kind:     hidden_grid_dims
    .group_segment_fixed_size: 0
    .kernarg_segment_align: 8
    .kernarg_segment_size: 288
    .language:       OpenCL C
    .language_version:
      - 2
      - 0
    .max_flat_workgroup_size: 1024
    .name:           _Z11fill_kernelIfZ21hipblaslt_init_deviceIfEv8ABC_dims24hipblaslt_initializationbPT_mmmmmEUlmE8_EvS4_mmT0_
    .private_segment_fixed_size: 0
    .sgpr_count:     18
    .sgpr_spill_count: 0
    .symbol:         _Z11fill_kernelIfZ21hipblaslt_init_deviceIfEv8ABC_dims24hipblaslt_initializationbPT_mmmmmEUlmE8_EvS4_mmT0_.kd
    .uniform_work_group_size: 1
    .uses_dynamic_stack: false
    .vgpr_count:     3
    .vgpr_spill_count: 0
    .wavefront_size: 32
    .workgroup_processor_mode: 1
  - .args:
      - .address_space:  global
        .offset:         0
        .size:           8
        .value_kind:     global_buffer
      - .offset:         8
        .size:           8
        .value_kind:     by_value
      - .offset:         16
        .size:           8
        .value_kind:     by_value
      - .offset:         24
        .size:           4
        .value_kind:     by_value
      - .offset:         32
        .size:           4
        .value_kind:     hidden_block_count_x
      - .offset:         36
        .size:           4
        .value_kind:     hidden_block_count_y
      - .offset:         40
        .size:           4
        .value_kind:     hidden_block_count_z
      - .offset:         44
        .size:           2
        .value_kind:     hidden_group_size_x
      - .offset:         46
        .size:           2
        .value_kind:     hidden_group_size_y
      - .offset:         48
        .size:           2
        .value_kind:     hidden_group_size_z
      - .offset:         50
        .size:           2
        .value_kind:     hidden_remainder_x
      - .offset:         52
        .size:           2
        .value_kind:     hidden_remainder_y
      - .offset:         54
        .size:           2
        .value_kind:     hidden_remainder_z
      - .offset:         72
        .size:           8
        .value_kind:     hidden_global_offset_x
      - .offset:         80
        .size:           8
        .value_kind:     hidden_global_offset_y
      - .offset:         88
        .size:           8
        .value_kind:     hidden_global_offset_z
      - .offset:         96
        .size:           2
        .value_kind:     hidden_grid_dims
    .group_segment_fixed_size: 0
    .kernarg_segment_align: 8
    .kernarg_segment_size: 288
    .language:       OpenCL C
    .language_version:
      - 2
      - 0
    .max_flat_workgroup_size: 1024
    .name:           _Z11fill_kernelIfZ21hipblaslt_init_deviceIfEv8ABC_dims24hipblaslt_initializationbPT_mmmmmEUlmE9_EvS4_mmT0_
    .private_segment_fixed_size: 0
    .sgpr_count:     18
    .sgpr_spill_count: 0
    .symbol:         _Z11fill_kernelIfZ21hipblaslt_init_deviceIfEv8ABC_dims24hipblaslt_initializationbPT_mmmmmEUlmE9_EvS4_mmT0_.kd
    .uniform_work_group_size: 1
    .uses_dynamic_stack: false
    .vgpr_count:     17
    .vgpr_spill_count: 0
    .wavefront_size: 32
    .workgroup_processor_mode: 1
  - .args:
      - .address_space:  global
        .offset:         0
        .size:           8
        .value_kind:     global_buffer
      - .offset:         8
        .size:           8
        .value_kind:     by_value
      - .offset:         16
        .size:           8
        .value_kind:     by_value
      - .offset:         24
        .size:           800
        .value_kind:     by_value
      - .offset:         824
        .size:           4
        .value_kind:     hidden_block_count_x
      - .offset:         828
        .size:           4
        .value_kind:     hidden_block_count_y
      - .offset:         832
        .size:           4
        .value_kind:     hidden_block_count_z
      - .offset:         836
        .size:           2
        .value_kind:     hidden_group_size_x
      - .offset:         838
        .size:           2
        .value_kind:     hidden_group_size_y
      - .offset:         840
        .size:           2
        .value_kind:     hidden_group_size_z
      - .offset:         842
        .size:           2
        .value_kind:     hidden_remainder_x
      - .offset:         844
        .size:           2
        .value_kind:     hidden_remainder_y
      - .offset:         846
        .size:           2
        .value_kind:     hidden_remainder_z
      - .offset:         864
        .size:           8
        .value_kind:     hidden_global_offset_x
      - .offset:         872
        .size:           8
        .value_kind:     hidden_global_offset_y
      - .offset:         880
        .size:           8
        .value_kind:     hidden_global_offset_z
      - .offset:         888
        .size:           2
        .value_kind:     hidden_grid_dims
    .group_segment_fixed_size: 0
    .kernarg_segment_align: 8
    .kernarg_segment_size: 1080
    .language:       OpenCL C
    .language_version:
      - 2
      - 0
    .max_flat_workgroup_size: 1024
    .name:           _Z11fill_kernelIdZ21hipblaslt_init_deviceIdEv8ABC_dims24hipblaslt_initializationbPT_mmmmmEUlmE_EvS4_mmT0_
    .private_segment_fixed_size: 0
    .sgpr_count:     18
    .sgpr_spill_count: 0
    .symbol:         _Z11fill_kernelIdZ21hipblaslt_init_deviceIdEv8ABC_dims24hipblaslt_initializationbPT_mmmmmEUlmE_EvS4_mmT0_.kd
    .uniform_work_group_size: 1
    .uses_dynamic_stack: false
    .vgpr_count:     6
    .vgpr_spill_count: 0
    .wavefront_size: 32
    .workgroup_processor_mode: 1
  - .args:
      - .address_space:  global
        .offset:         0
        .size:           8
        .value_kind:     global_buffer
      - .offset:         8
        .size:           8
        .value_kind:     by_value
      - .offset:         16
        .size:           8
        .value_kind:     by_value
      - .offset:         24
        .size:           1
        .value_kind:     by_value
      - .offset:         32
        .size:           4
        .value_kind:     hidden_block_count_x
      - .offset:         36
        .size:           4
        .value_kind:     hidden_block_count_y
      - .offset:         40
        .size:           4
        .value_kind:     hidden_block_count_z
      - .offset:         44
        .size:           2
        .value_kind:     hidden_group_size_x
      - .offset:         46
        .size:           2
        .value_kind:     hidden_group_size_y
      - .offset:         48
        .size:           2
        .value_kind:     hidden_group_size_z
      - .offset:         50
        .size:           2
        .value_kind:     hidden_remainder_x
      - .offset:         52
        .size:           2
        .value_kind:     hidden_remainder_y
      - .offset:         54
        .size:           2
        .value_kind:     hidden_remainder_z
      - .offset:         72
        .size:           8
        .value_kind:     hidden_global_offset_x
      - .offset:         80
        .size:           8
        .value_kind:     hidden_global_offset_y
      - .offset:         88
        .size:           8
        .value_kind:     hidden_global_offset_z
      - .offset:         96
        .size:           2
        .value_kind:     hidden_grid_dims
    .group_segment_fixed_size: 0
    .kernarg_segment_align: 8
    .kernarg_segment_size: 288
    .language:       OpenCL C
    .language_version:
      - 2
      - 0
    .max_flat_workgroup_size: 1024
    .name:           _Z11fill_kernelIdZ21hipblaslt_init_deviceIdEv8ABC_dims24hipblaslt_initializationbPT_mmmmmEUlmE0_EvS4_mmT0_
    .private_segment_fixed_size: 0
    .sgpr_count:     18
    .sgpr_spill_count: 0
    .symbol:         _Z11fill_kernelIdZ21hipblaslt_init_deviceIdEv8ABC_dims24hipblaslt_initializationbPT_mmmmmEUlmE0_EvS4_mmT0_.kd
    .uniform_work_group_size: 1
    .uses_dynamic_stack: false
    .vgpr_count:     6
    .vgpr_spill_count: 0
    .wavefront_size: 32
    .workgroup_processor_mode: 1
  - .args:
      - .address_space:  global
        .offset:         0
        .size:           8
        .value_kind:     global_buffer
      - .offset:         8
        .size:           8
        .value_kind:     by_value
      - .offset:         16
        .size:           8
        .value_kind:     by_value
      - .offset:         24
        .size:           16
        .value_kind:     by_value
      - .offset:         40
        .size:           4
        .value_kind:     hidden_block_count_x
      - .offset:         44
        .size:           4
        .value_kind:     hidden_block_count_y
      - .offset:         48
        .size:           4
        .value_kind:     hidden_block_count_z
      - .offset:         52
        .size:           2
        .value_kind:     hidden_group_size_x
      - .offset:         54
        .size:           2
        .value_kind:     hidden_group_size_y
      - .offset:         56
        .size:           2
        .value_kind:     hidden_group_size_z
      - .offset:         58
        .size:           2
        .value_kind:     hidden_remainder_x
      - .offset:         60
        .size:           2
        .value_kind:     hidden_remainder_y
      - .offset:         62
        .size:           2
        .value_kind:     hidden_remainder_z
      - .offset:         80
        .size:           8
        .value_kind:     hidden_global_offset_x
      - .offset:         88
        .size:           8
        .value_kind:     hidden_global_offset_y
      - .offset:         96
        .size:           8
        .value_kind:     hidden_global_offset_z
      - .offset:         104
        .size:           2
        .value_kind:     hidden_grid_dims
    .group_segment_fixed_size: 0
    .kernarg_segment_align: 8
    .kernarg_segment_size: 296
    .language:       OpenCL C
    .language_version:
      - 2
      - 0
    .max_flat_workgroup_size: 1024
    .name:           _Z11fill_kernelIdZ21hipblaslt_init_deviceIdEv8ABC_dims24hipblaslt_initializationbPT_mmmmmEUlmE1_EvS4_mmT0_
    .private_segment_fixed_size: 0
    .sgpr_count:     18
    .sgpr_spill_count: 0
    .symbol:         _Z11fill_kernelIdZ21hipblaslt_init_deviceIdEv8ABC_dims24hipblaslt_initializationbPT_mmmmmEUlmE1_EvS4_mmT0_.kd
    .uniform_work_group_size: 1
    .uses_dynamic_stack: false
    .vgpr_count:     13
    .vgpr_spill_count: 0
    .wavefront_size: 32
    .workgroup_processor_mode: 1
  - .args:
      - .address_space:  global
        .offset:         0
        .size:           8
        .value_kind:     global_buffer
      - .offset:         8
        .size:           8
        .value_kind:     by_value
      - .offset:         16
        .size:           8
        .value_kind:     by_value
      - .offset:         24
        .size:           32
        .value_kind:     by_value
      - .offset:         56
        .size:           4
        .value_kind:     hidden_block_count_x
      - .offset:         60
        .size:           4
        .value_kind:     hidden_block_count_y
      - .offset:         64
        .size:           4
        .value_kind:     hidden_block_count_z
      - .offset:         68
        .size:           2
        .value_kind:     hidden_group_size_x
      - .offset:         70
        .size:           2
        .value_kind:     hidden_group_size_y
      - .offset:         72
        .size:           2
        .value_kind:     hidden_group_size_z
      - .offset:         74
        .size:           2
        .value_kind:     hidden_remainder_x
      - .offset:         76
        .size:           2
        .value_kind:     hidden_remainder_y
      - .offset:         78
        .size:           2
        .value_kind:     hidden_remainder_z
      - .offset:         96
        .size:           8
        .value_kind:     hidden_global_offset_x
      - .offset:         104
        .size:           8
        .value_kind:     hidden_global_offset_y
      - .offset:         112
        .size:           8
        .value_kind:     hidden_global_offset_z
      - .offset:         120
        .size:           2
        .value_kind:     hidden_grid_dims
    .group_segment_fixed_size: 0
    .kernarg_segment_align: 8
    .kernarg_segment_size: 312
    .language:       OpenCL C
    .language_version:
      - 2
      - 0
    .max_flat_workgroup_size: 1024
    .name:           _Z11fill_kernelIdZ21hipblaslt_init_deviceIdEv8ABC_dims24hipblaslt_initializationbPT_mmmmmEUlmE2_EvS4_mmT0_
    .private_segment_fixed_size: 0
    .sgpr_count:     22
    .sgpr_spill_count: 0
    .symbol:         _Z11fill_kernelIdZ21hipblaslt_init_deviceIdEv8ABC_dims24hipblaslt_initializationbPT_mmmmmEUlmE2_EvS4_mmT0_.kd
    .uniform_work_group_size: 1
    .uses_dynamic_stack: false
    .vgpr_count:     33
    .vgpr_spill_count: 0
    .wavefront_size: 32
    .workgroup_processor_mode: 1
  - .args:
      - .address_space:  global
        .offset:         0
        .size:           8
        .value_kind:     global_buffer
      - .offset:         8
        .size:           8
        .value_kind:     by_value
      - .offset:         16
        .size:           8
        .value_kind:     by_value
      - .offset:         24
        .size:           32
        .value_kind:     by_value
      - .offset:         56
        .size:           4
        .value_kind:     hidden_block_count_x
      - .offset:         60
        .size:           4
        .value_kind:     hidden_block_count_y
      - .offset:         64
        .size:           4
        .value_kind:     hidden_block_count_z
      - .offset:         68
        .size:           2
        .value_kind:     hidden_group_size_x
      - .offset:         70
        .size:           2
        .value_kind:     hidden_group_size_y
      - .offset:         72
        .size:           2
        .value_kind:     hidden_group_size_z
      - .offset:         74
        .size:           2
        .value_kind:     hidden_remainder_x
      - .offset:         76
        .size:           2
        .value_kind:     hidden_remainder_y
      - .offset:         78
        .size:           2
        .value_kind:     hidden_remainder_z
      - .offset:         96
        .size:           8
        .value_kind:     hidden_global_offset_x
      - .offset:         104
        .size:           8
        .value_kind:     hidden_global_offset_y
      - .offset:         112
        .size:           8
        .value_kind:     hidden_global_offset_z
      - .offset:         120
        .size:           2
        .value_kind:     hidden_grid_dims
    .group_segment_fixed_size: 0
    .kernarg_segment_align: 8
    .kernarg_segment_size: 312
    .language:       OpenCL C
    .language_version:
      - 2
      - 0
    .max_flat_workgroup_size: 1024
    .name:           _Z11fill_kernelIdZ21hipblaslt_init_deviceIdEv8ABC_dims24hipblaslt_initializationbPT_mmmmmEUlmE3_EvS4_mmT0_
    .private_segment_fixed_size: 0
    .sgpr_count:     22
    .sgpr_spill_count: 0
    .symbol:         _Z11fill_kernelIdZ21hipblaslt_init_deviceIdEv8ABC_dims24hipblaslt_initializationbPT_mmmmmEUlmE3_EvS4_mmT0_.kd
    .uniform_work_group_size: 1
    .uses_dynamic_stack: false
    .vgpr_count:     33
    .vgpr_spill_count: 0
    .wavefront_size: 32
    .workgroup_processor_mode: 1
  - .args:
      - .address_space:  global
        .offset:         0
        .size:           8
        .value_kind:     global_buffer
      - .offset:         8
        .size:           8
        .value_kind:     by_value
      - .offset:         16
        .size:           8
        .value_kind:     by_value
      - .offset:         24
        .size:           1
        .value_kind:     by_value
      - .offset:         32
        .size:           4
        .value_kind:     hidden_block_count_x
      - .offset:         36
        .size:           4
        .value_kind:     hidden_block_count_y
      - .offset:         40
        .size:           4
        .value_kind:     hidden_block_count_z
      - .offset:         44
        .size:           2
        .value_kind:     hidden_group_size_x
      - .offset:         46
        .size:           2
        .value_kind:     hidden_group_size_y
      - .offset:         48
        .size:           2
        .value_kind:     hidden_group_size_z
      - .offset:         50
        .size:           2
        .value_kind:     hidden_remainder_x
      - .offset:         52
        .size:           2
        .value_kind:     hidden_remainder_y
      - .offset:         54
        .size:           2
        .value_kind:     hidden_remainder_z
      - .offset:         72
        .size:           8
        .value_kind:     hidden_global_offset_x
      - .offset:         80
        .size:           8
        .value_kind:     hidden_global_offset_y
      - .offset:         88
        .size:           8
        .value_kind:     hidden_global_offset_z
      - .offset:         96
        .size:           2
        .value_kind:     hidden_grid_dims
    .group_segment_fixed_size: 0
    .kernarg_segment_align: 8
    .kernarg_segment_size: 288
    .language:       OpenCL C
    .language_version:
      - 2
      - 0
    .max_flat_workgroup_size: 1024
    .name:           _Z11fill_kernelIdZ21hipblaslt_init_deviceIdEv8ABC_dims24hipblaslt_initializationbPT_mmmmmEUlmE4_EvS4_mmT0_
    .private_segment_fixed_size: 0
    .sgpr_count:     18
    .sgpr_spill_count: 0
    .symbol:         _Z11fill_kernelIdZ21hipblaslt_init_deviceIdEv8ABC_dims24hipblaslt_initializationbPT_mmmmmEUlmE4_EvS4_mmT0_.kd
    .uniform_work_group_size: 1
    .uses_dynamic_stack: false
    .vgpr_count:     12
    .vgpr_spill_count: 0
    .wavefront_size: 32
    .workgroup_processor_mode: 1
  - .args:
      - .address_space:  global
        .offset:         0
        .size:           8
        .value_kind:     global_buffer
      - .offset:         8
        .size:           8
        .value_kind:     by_value
      - .offset:         16
        .size:           8
        .value_kind:     by_value
      - .offset:         24
        .size:           1
        .value_kind:     by_value
      - .offset:         32
        .size:           4
        .value_kind:     hidden_block_count_x
      - .offset:         36
        .size:           4
        .value_kind:     hidden_block_count_y
      - .offset:         40
        .size:           4
        .value_kind:     hidden_block_count_z
      - .offset:         44
        .size:           2
        .value_kind:     hidden_group_size_x
      - .offset:         46
        .size:           2
        .value_kind:     hidden_group_size_y
      - .offset:         48
        .size:           2
        .value_kind:     hidden_group_size_z
      - .offset:         50
        .size:           2
        .value_kind:     hidden_remainder_x
      - .offset:         52
        .size:           2
        .value_kind:     hidden_remainder_y
      - .offset:         54
        .size:           2
        .value_kind:     hidden_remainder_z
      - .offset:         72
        .size:           8
        .value_kind:     hidden_global_offset_x
      - .offset:         80
        .size:           8
        .value_kind:     hidden_global_offset_y
      - .offset:         88
        .size:           8
        .value_kind:     hidden_global_offset_z
      - .offset:         96
        .size:           2
        .value_kind:     hidden_grid_dims
    .group_segment_fixed_size: 0
    .kernarg_segment_align: 8
    .kernarg_segment_size: 288
    .language:       OpenCL C
    .language_version:
      - 2
      - 0
    .max_flat_workgroup_size: 1024
    .name:           _Z11fill_kernelIdZ21hipblaslt_init_deviceIdEv8ABC_dims24hipblaslt_initializationbPT_mmmmmEUlmE5_EvS4_mmT0_
    .private_segment_fixed_size: 0
    .sgpr_count:     18
    .sgpr_spill_count: 0
    .symbol:         _Z11fill_kernelIdZ21hipblaslt_init_deviceIdEv8ABC_dims24hipblaslt_initializationbPT_mmmmmEUlmE5_EvS4_mmT0_.kd
    .uniform_work_group_size: 1
    .uses_dynamic_stack: false
    .vgpr_count:     4
    .vgpr_spill_count: 0
    .wavefront_size: 32
    .workgroup_processor_mode: 1
  - .args:
      - .address_space:  global
        .offset:         0
        .size:           8
        .value_kind:     global_buffer
      - .offset:         8
        .size:           8
        .value_kind:     by_value
      - .offset:         16
        .size:           8
        .value_kind:     by_value
      - .offset:         24
        .size:           1
        .value_kind:     by_value
      - .offset:         32
        .size:           4
        .value_kind:     hidden_block_count_x
      - .offset:         36
        .size:           4
        .value_kind:     hidden_block_count_y
      - .offset:         40
        .size:           4
        .value_kind:     hidden_block_count_z
      - .offset:         44
        .size:           2
        .value_kind:     hidden_group_size_x
      - .offset:         46
        .size:           2
        .value_kind:     hidden_group_size_y
      - .offset:         48
        .size:           2
        .value_kind:     hidden_group_size_z
      - .offset:         50
        .size:           2
        .value_kind:     hidden_remainder_x
      - .offset:         52
        .size:           2
        .value_kind:     hidden_remainder_y
      - .offset:         54
        .size:           2
        .value_kind:     hidden_remainder_z
      - .offset:         72
        .size:           8
        .value_kind:     hidden_global_offset_x
      - .offset:         80
        .size:           8
        .value_kind:     hidden_global_offset_y
      - .offset:         88
        .size:           8
        .value_kind:     hidden_global_offset_z
      - .offset:         96
        .size:           2
        .value_kind:     hidden_grid_dims
    .group_segment_fixed_size: 0
    .kernarg_segment_align: 8
    .kernarg_segment_size: 288
    .language:       OpenCL C
    .language_version:
      - 2
      - 0
    .max_flat_workgroup_size: 1024
    .name:           _Z11fill_kernelIdZ21hipblaslt_init_deviceIdEv8ABC_dims24hipblaslt_initializationbPT_mmmmmEUlmE6_EvS4_mmT0_
    .private_segment_fixed_size: 0
    .sgpr_count:     18
    .sgpr_spill_count: 0
    .symbol:         _Z11fill_kernelIdZ21hipblaslt_init_deviceIdEv8ABC_dims24hipblaslt_initializationbPT_mmmmmEUlmE6_EvS4_mmT0_.kd
    .uniform_work_group_size: 1
    .uses_dynamic_stack: false
    .vgpr_count:     4
    .vgpr_spill_count: 0
    .wavefront_size: 32
    .workgroup_processor_mode: 1
  - .args:
      - .address_space:  global
        .offset:         0
        .size:           8
        .value_kind:     global_buffer
      - .offset:         8
        .size:           8
        .value_kind:     by_value
      - .offset:         16
        .size:           8
        .value_kind:     by_value
      - .offset:         24
        .size:           1
        .value_kind:     by_value
      - .offset:         32
        .size:           4
        .value_kind:     hidden_block_count_x
      - .offset:         36
        .size:           4
        .value_kind:     hidden_block_count_y
      - .offset:         40
        .size:           4
        .value_kind:     hidden_block_count_z
      - .offset:         44
        .size:           2
        .value_kind:     hidden_group_size_x
      - .offset:         46
        .size:           2
        .value_kind:     hidden_group_size_y
      - .offset:         48
        .size:           2
        .value_kind:     hidden_group_size_z
      - .offset:         50
        .size:           2
        .value_kind:     hidden_remainder_x
      - .offset:         52
        .size:           2
        .value_kind:     hidden_remainder_y
      - .offset:         54
        .size:           2
        .value_kind:     hidden_remainder_z
      - .offset:         72
        .size:           8
        .value_kind:     hidden_global_offset_x
      - .offset:         80
        .size:           8
        .value_kind:     hidden_global_offset_y
      - .offset:         88
        .size:           8
        .value_kind:     hidden_global_offset_z
      - .offset:         96
        .size:           2
        .value_kind:     hidden_grid_dims
    .group_segment_fixed_size: 0
    .kernarg_segment_align: 8
    .kernarg_segment_size: 288
    .language:       OpenCL C
    .language_version:
      - 2
      - 0
    .max_flat_workgroup_size: 1024
    .name:           _Z11fill_kernelIdZ21hipblaslt_init_deviceIdEv8ABC_dims24hipblaslt_initializationbPT_mmmmmEUlmE7_EvS4_mmT0_
    .private_segment_fixed_size: 0
    .sgpr_count:     18
    .sgpr_spill_count: 0
    .symbol:         _Z11fill_kernelIdZ21hipblaslt_init_deviceIdEv8ABC_dims24hipblaslt_initializationbPT_mmmmmEUlmE7_EvS4_mmT0_.kd
    .uniform_work_group_size: 1
    .uses_dynamic_stack: false
    .vgpr_count:     6
    .vgpr_spill_count: 0
    .wavefront_size: 32
    .workgroup_processor_mode: 1
  - .args:
      - .address_space:  global
        .offset:         0
        .size:           8
        .value_kind:     global_buffer
      - .offset:         8
        .size:           8
        .value_kind:     by_value
      - .offset:         16
        .size:           8
        .value_kind:     by_value
      - .offset:         24
        .size:           1
        .value_kind:     by_value
      - .offset:         32
        .size:           4
        .value_kind:     hidden_block_count_x
      - .offset:         36
        .size:           4
        .value_kind:     hidden_block_count_y
      - .offset:         40
        .size:           4
        .value_kind:     hidden_block_count_z
      - .offset:         44
        .size:           2
        .value_kind:     hidden_group_size_x
      - .offset:         46
        .size:           2
        .value_kind:     hidden_group_size_y
      - .offset:         48
        .size:           2
        .value_kind:     hidden_group_size_z
      - .offset:         50
        .size:           2
        .value_kind:     hidden_remainder_x
      - .offset:         52
        .size:           2
        .value_kind:     hidden_remainder_y
      - .offset:         54
        .size:           2
        .value_kind:     hidden_remainder_z
      - .offset:         72
        .size:           8
        .value_kind:     hidden_global_offset_x
      - .offset:         80
        .size:           8
        .value_kind:     hidden_global_offset_y
      - .offset:         88
        .size:           8
        .value_kind:     hidden_global_offset_z
      - .offset:         96
        .size:           2
        .value_kind:     hidden_grid_dims
    .group_segment_fixed_size: 0
    .kernarg_segment_align: 8
    .kernarg_segment_size: 288
    .language:       OpenCL C
    .language_version:
      - 2
      - 0
    .max_flat_workgroup_size: 1024
    .name:           _Z11fill_kernelIdZ21hipblaslt_init_deviceIdEv8ABC_dims24hipblaslt_initializationbPT_mmmmmEUlmE8_EvS4_mmT0_
    .private_segment_fixed_size: 0
    .sgpr_count:     18
    .sgpr_spill_count: 0
    .symbol:         _Z11fill_kernelIdZ21hipblaslt_init_deviceIdEv8ABC_dims24hipblaslt_initializationbPT_mmmmmEUlmE8_EvS4_mmT0_.kd
    .uniform_work_group_size: 1
    .uses_dynamic_stack: false
    .vgpr_count:     5
    .vgpr_spill_count: 0
    .wavefront_size: 32
    .workgroup_processor_mode: 1
  - .args:
      - .address_space:  global
        .offset:         0
        .size:           8
        .value_kind:     global_buffer
      - .offset:         8
        .size:           8
        .value_kind:     by_value
      - .offset:         16
        .size:           8
        .value_kind:     by_value
      - .offset:         24
        .size:           4
        .value_kind:     by_value
      - .offset:         32
        .size:           4
        .value_kind:     hidden_block_count_x
      - .offset:         36
        .size:           4
        .value_kind:     hidden_block_count_y
      - .offset:         40
        .size:           4
        .value_kind:     hidden_block_count_z
      - .offset:         44
        .size:           2
        .value_kind:     hidden_group_size_x
      - .offset:         46
        .size:           2
        .value_kind:     hidden_group_size_y
      - .offset:         48
        .size:           2
        .value_kind:     hidden_group_size_z
      - .offset:         50
        .size:           2
        .value_kind:     hidden_remainder_x
      - .offset:         52
        .size:           2
        .value_kind:     hidden_remainder_y
      - .offset:         54
        .size:           2
        .value_kind:     hidden_remainder_z
      - .offset:         72
        .size:           8
        .value_kind:     hidden_global_offset_x
      - .offset:         80
        .size:           8
        .value_kind:     hidden_global_offset_y
      - .offset:         88
        .size:           8
        .value_kind:     hidden_global_offset_z
      - .offset:         96
        .size:           2
        .value_kind:     hidden_grid_dims
    .group_segment_fixed_size: 0
    .kernarg_segment_align: 8
    .kernarg_segment_size: 288
    .language:       OpenCL C
    .language_version:
      - 2
      - 0
    .max_flat_workgroup_size: 1024
    .name:           _Z11fill_kernelIdZ21hipblaslt_init_deviceIdEv8ABC_dims24hipblaslt_initializationbPT_mmmmmEUlmE9_EvS4_mmT0_
    .private_segment_fixed_size: 0
    .sgpr_count:     18
    .sgpr_spill_count: 0
    .symbol:         _Z11fill_kernelIdZ21hipblaslt_init_deviceIdEv8ABC_dims24hipblaslt_initializationbPT_mmmmmEUlmE9_EvS4_mmT0_.kd
    .uniform_work_group_size: 1
    .uses_dynamic_stack: false
    .vgpr_count:     17
    .vgpr_spill_count: 0
    .wavefront_size: 32
    .workgroup_processor_mode: 1
  - .args:
      - .address_space:  global
        .offset:         0
        .size:           8
        .value_kind:     global_buffer
      - .offset:         8
        .size:           8
        .value_kind:     by_value
      - .offset:         16
        .size:           8
        .value_kind:     by_value
      - .offset:         24
        .size:           200
        .value_kind:     by_value
      - .offset:         224
        .size:           4
        .value_kind:     hidden_block_count_x
      - .offset:         228
        .size:           4
        .value_kind:     hidden_block_count_y
      - .offset:         232
        .size:           4
        .value_kind:     hidden_block_count_z
      - .offset:         236
        .size:           2
        .value_kind:     hidden_group_size_x
      - .offset:         238
        .size:           2
        .value_kind:     hidden_group_size_y
      - .offset:         240
        .size:           2
        .value_kind:     hidden_group_size_z
      - .offset:         242
        .size:           2
        .value_kind:     hidden_remainder_x
      - .offset:         244
        .size:           2
        .value_kind:     hidden_remainder_y
      - .offset:         246
        .size:           2
        .value_kind:     hidden_remainder_z
      - .offset:         264
        .size:           8
        .value_kind:     hidden_global_offset_x
      - .offset:         272
        .size:           8
        .value_kind:     hidden_global_offset_y
      - .offset:         280
        .size:           8
        .value_kind:     hidden_global_offset_z
      - .offset:         288
        .size:           2
        .value_kind:     hidden_grid_dims
    .group_segment_fixed_size: 0
    .kernarg_segment_align: 8
    .kernarg_segment_size: 480
    .language:       OpenCL C
    .language_version:
      - 2
      - 0
    .max_flat_workgroup_size: 1024
    .name:           _Z11fill_kernelIDF16_Z21hipblaslt_init_deviceIDF16_Ev8ABC_dims24hipblaslt_initializationbPT_mmmmmEUlmE_EvS4_mmT0_
    .private_segment_fixed_size: 0
    .sgpr_count:     18
    .sgpr_spill_count: 0
    .symbol:         _Z11fill_kernelIDF16_Z21hipblaslt_init_deviceIDF16_Ev8ABC_dims24hipblaslt_initializationbPT_mmmmmEUlmE_EvS4_mmT0_.kd
    .uniform_work_group_size: 1
    .uses_dynamic_stack: false
    .vgpr_count:     6
    .vgpr_spill_count: 0
    .wavefront_size: 32
    .workgroup_processor_mode: 1
  - .args:
      - .address_space:  global
        .offset:         0
        .size:           8
        .value_kind:     global_buffer
      - .offset:         8
        .size:           8
        .value_kind:     by_value
      - .offset:         16
        .size:           8
        .value_kind:     by_value
      - .offset:         24
        .size:           1
        .value_kind:     by_value
      - .offset:         32
        .size:           4
        .value_kind:     hidden_block_count_x
      - .offset:         36
        .size:           4
        .value_kind:     hidden_block_count_y
      - .offset:         40
        .size:           4
        .value_kind:     hidden_block_count_z
      - .offset:         44
        .size:           2
        .value_kind:     hidden_group_size_x
      - .offset:         46
        .size:           2
        .value_kind:     hidden_group_size_y
      - .offset:         48
        .size:           2
        .value_kind:     hidden_group_size_z
      - .offset:         50
        .size:           2
        .value_kind:     hidden_remainder_x
      - .offset:         52
        .size:           2
        .value_kind:     hidden_remainder_y
      - .offset:         54
        .size:           2
        .value_kind:     hidden_remainder_z
      - .offset:         72
        .size:           8
        .value_kind:     hidden_global_offset_x
      - .offset:         80
        .size:           8
        .value_kind:     hidden_global_offset_y
      - .offset:         88
        .size:           8
        .value_kind:     hidden_global_offset_z
      - .offset:         96
        .size:           2
        .value_kind:     hidden_grid_dims
    .group_segment_fixed_size: 0
    .kernarg_segment_align: 8
    .kernarg_segment_size: 288
    .language:       OpenCL C
    .language_version:
      - 2
      - 0
    .max_flat_workgroup_size: 1024
    .name:           _Z11fill_kernelIDF16_Z21hipblaslt_init_deviceIDF16_Ev8ABC_dims24hipblaslt_initializationbPT_mmmmmEUlmE0_EvS4_mmT0_
    .private_segment_fixed_size: 0
    .sgpr_count:     18
    .sgpr_spill_count: 0
    .symbol:         _Z11fill_kernelIDF16_Z21hipblaslt_init_deviceIDF16_Ev8ABC_dims24hipblaslt_initializationbPT_mmmmmEUlmE0_EvS4_mmT0_.kd
    .uniform_work_group_size: 1
    .uses_dynamic_stack: false
    .vgpr_count:     6
    .vgpr_spill_count: 0
    .wavefront_size: 32
    .workgroup_processor_mode: 1
  - .args:
      - .address_space:  global
        .offset:         0
        .size:           8
        .value_kind:     global_buffer
      - .offset:         8
        .size:           8
        .value_kind:     by_value
      - .offset:         16
        .size:           8
        .value_kind:     by_value
      - .offset:         24
        .size:           16
        .value_kind:     by_value
      - .offset:         40
        .size:           4
        .value_kind:     hidden_block_count_x
      - .offset:         44
        .size:           4
        .value_kind:     hidden_block_count_y
      - .offset:         48
        .size:           4
        .value_kind:     hidden_block_count_z
      - .offset:         52
        .size:           2
        .value_kind:     hidden_group_size_x
      - .offset:         54
        .size:           2
        .value_kind:     hidden_group_size_y
      - .offset:         56
        .size:           2
        .value_kind:     hidden_group_size_z
      - .offset:         58
        .size:           2
        .value_kind:     hidden_remainder_x
      - .offset:         60
        .size:           2
        .value_kind:     hidden_remainder_y
      - .offset:         62
        .size:           2
        .value_kind:     hidden_remainder_z
      - .offset:         80
        .size:           8
        .value_kind:     hidden_global_offset_x
      - .offset:         88
        .size:           8
        .value_kind:     hidden_global_offset_y
      - .offset:         96
        .size:           8
        .value_kind:     hidden_global_offset_z
      - .offset:         104
        .size:           2
        .value_kind:     hidden_grid_dims
    .group_segment_fixed_size: 0
    .kernarg_segment_align: 8
    .kernarg_segment_size: 296
    .language:       OpenCL C
    .language_version:
      - 2
      - 0
    .max_flat_workgroup_size: 1024
    .name:           _Z11fill_kernelIDF16_Z21hipblaslt_init_deviceIDF16_Ev8ABC_dims24hipblaslt_initializationbPT_mmmmmEUlmE1_EvS4_mmT0_
    .private_segment_fixed_size: 0
    .sgpr_count:     18
    .sgpr_spill_count: 0
    .symbol:         _Z11fill_kernelIDF16_Z21hipblaslt_init_deviceIDF16_Ev8ABC_dims24hipblaslt_initializationbPT_mmmmmEUlmE1_EvS4_mmT0_.kd
    .uniform_work_group_size: 1
    .uses_dynamic_stack: false
    .vgpr_count:     13
    .vgpr_spill_count: 0
    .wavefront_size: 32
    .workgroup_processor_mode: 1
  - .args:
      - .address_space:  global
        .offset:         0
        .size:           8
        .value_kind:     global_buffer
      - .offset:         8
        .size:           8
        .value_kind:     by_value
      - .offset:         16
        .size:           8
        .value_kind:     by_value
      - .offset:         24
        .size:           32
        .value_kind:     by_value
      - .offset:         56
        .size:           4
        .value_kind:     hidden_block_count_x
      - .offset:         60
        .size:           4
        .value_kind:     hidden_block_count_y
      - .offset:         64
        .size:           4
        .value_kind:     hidden_block_count_z
      - .offset:         68
        .size:           2
        .value_kind:     hidden_group_size_x
      - .offset:         70
        .size:           2
        .value_kind:     hidden_group_size_y
      - .offset:         72
        .size:           2
        .value_kind:     hidden_group_size_z
      - .offset:         74
        .size:           2
        .value_kind:     hidden_remainder_x
      - .offset:         76
        .size:           2
        .value_kind:     hidden_remainder_y
      - .offset:         78
        .size:           2
        .value_kind:     hidden_remainder_z
      - .offset:         96
        .size:           8
        .value_kind:     hidden_global_offset_x
      - .offset:         104
        .size:           8
        .value_kind:     hidden_global_offset_y
      - .offset:         112
        .size:           8
        .value_kind:     hidden_global_offset_z
      - .offset:         120
        .size:           2
        .value_kind:     hidden_grid_dims
    .group_segment_fixed_size: 0
    .kernarg_segment_align: 8
    .kernarg_segment_size: 312
    .language:       OpenCL C
    .language_version:
      - 2
      - 0
    .max_flat_workgroup_size: 1024
    .name:           _Z11fill_kernelIDF16_Z21hipblaslt_init_deviceIDF16_Ev8ABC_dims24hipblaslt_initializationbPT_mmmmmEUlmE2_EvS4_mmT0_
    .private_segment_fixed_size: 0
    .sgpr_count:     22
    .sgpr_spill_count: 0
    .symbol:         _Z11fill_kernelIDF16_Z21hipblaslt_init_deviceIDF16_Ev8ABC_dims24hipblaslt_initializationbPT_mmmmmEUlmE2_EvS4_mmT0_.kd
    .uniform_work_group_size: 1
    .uses_dynamic_stack: false
    .vgpr_count:     33
    .vgpr_spill_count: 0
    .wavefront_size: 32
    .workgroup_processor_mode: 1
  - .args:
      - .address_space:  global
        .offset:         0
        .size:           8
        .value_kind:     global_buffer
      - .offset:         8
        .size:           8
        .value_kind:     by_value
      - .offset:         16
        .size:           8
        .value_kind:     by_value
      - .offset:         24
        .size:           32
        .value_kind:     by_value
      - .offset:         56
        .size:           4
        .value_kind:     hidden_block_count_x
      - .offset:         60
        .size:           4
        .value_kind:     hidden_block_count_y
      - .offset:         64
        .size:           4
        .value_kind:     hidden_block_count_z
      - .offset:         68
        .size:           2
        .value_kind:     hidden_group_size_x
      - .offset:         70
        .size:           2
        .value_kind:     hidden_group_size_y
      - .offset:         72
        .size:           2
        .value_kind:     hidden_group_size_z
      - .offset:         74
        .size:           2
        .value_kind:     hidden_remainder_x
      - .offset:         76
        .size:           2
        .value_kind:     hidden_remainder_y
      - .offset:         78
        .size:           2
        .value_kind:     hidden_remainder_z
      - .offset:         96
        .size:           8
        .value_kind:     hidden_global_offset_x
      - .offset:         104
        .size:           8
        .value_kind:     hidden_global_offset_y
      - .offset:         112
        .size:           8
        .value_kind:     hidden_global_offset_z
      - .offset:         120
        .size:           2
        .value_kind:     hidden_grid_dims
    .group_segment_fixed_size: 0
    .kernarg_segment_align: 8
    .kernarg_segment_size: 312
    .language:       OpenCL C
    .language_version:
      - 2
      - 0
    .max_flat_workgroup_size: 1024
    .name:           _Z11fill_kernelIDF16_Z21hipblaslt_init_deviceIDF16_Ev8ABC_dims24hipblaslt_initializationbPT_mmmmmEUlmE3_EvS4_mmT0_
    .private_segment_fixed_size: 0
    .sgpr_count:     22
    .sgpr_spill_count: 0
    .symbol:         _Z11fill_kernelIDF16_Z21hipblaslt_init_deviceIDF16_Ev8ABC_dims24hipblaslt_initializationbPT_mmmmmEUlmE3_EvS4_mmT0_.kd
    .uniform_work_group_size: 1
    .uses_dynamic_stack: false
    .vgpr_count:     33
    .vgpr_spill_count: 0
    .wavefront_size: 32
    .workgroup_processor_mode: 1
  - .args:
      - .address_space:  global
        .offset:         0
        .size:           8
        .value_kind:     global_buffer
      - .offset:         8
        .size:           8
        .value_kind:     by_value
      - .offset:         16
        .size:           8
        .value_kind:     by_value
      - .offset:         24
        .size:           1
        .value_kind:     by_value
      - .offset:         32
        .size:           4
        .value_kind:     hidden_block_count_x
      - .offset:         36
        .size:           4
        .value_kind:     hidden_block_count_y
      - .offset:         40
        .size:           4
        .value_kind:     hidden_block_count_z
      - .offset:         44
        .size:           2
        .value_kind:     hidden_group_size_x
      - .offset:         46
        .size:           2
        .value_kind:     hidden_group_size_y
      - .offset:         48
        .size:           2
        .value_kind:     hidden_group_size_z
      - .offset:         50
        .size:           2
        .value_kind:     hidden_remainder_x
      - .offset:         52
        .size:           2
        .value_kind:     hidden_remainder_y
      - .offset:         54
        .size:           2
        .value_kind:     hidden_remainder_z
      - .offset:         72
        .size:           8
        .value_kind:     hidden_global_offset_x
      - .offset:         80
        .size:           8
        .value_kind:     hidden_global_offset_y
      - .offset:         88
        .size:           8
        .value_kind:     hidden_global_offset_z
      - .offset:         96
        .size:           2
        .value_kind:     hidden_grid_dims
    .group_segment_fixed_size: 0
    .kernarg_segment_align: 8
    .kernarg_segment_size: 288
    .language:       OpenCL C
    .language_version:
      - 2
      - 0
    .max_flat_workgroup_size: 1024
    .name:           _Z11fill_kernelIDF16_Z21hipblaslt_init_deviceIDF16_Ev8ABC_dims24hipblaslt_initializationbPT_mmmmmEUlmE4_EvS4_mmT0_
    .private_segment_fixed_size: 0
    .sgpr_count:     18
    .sgpr_spill_count: 0
    .symbol:         _Z11fill_kernelIDF16_Z21hipblaslt_init_deviceIDF16_Ev8ABC_dims24hipblaslt_initializationbPT_mmmmmEUlmE4_EvS4_mmT0_.kd
    .uniform_work_group_size: 1
    .uses_dynamic_stack: false
    .vgpr_count:     12
    .vgpr_spill_count: 0
    .wavefront_size: 32
    .workgroup_processor_mode: 1
  - .args:
      - .address_space:  global
        .offset:         0
        .size:           8
        .value_kind:     global_buffer
      - .offset:         8
        .size:           8
        .value_kind:     by_value
      - .offset:         16
        .size:           8
        .value_kind:     by_value
      - .offset:         24
        .size:           1
        .value_kind:     by_value
      - .offset:         32
        .size:           4
        .value_kind:     hidden_block_count_x
      - .offset:         36
        .size:           4
        .value_kind:     hidden_block_count_y
      - .offset:         40
        .size:           4
        .value_kind:     hidden_block_count_z
      - .offset:         44
        .size:           2
        .value_kind:     hidden_group_size_x
      - .offset:         46
        .size:           2
        .value_kind:     hidden_group_size_y
      - .offset:         48
        .size:           2
        .value_kind:     hidden_group_size_z
      - .offset:         50
        .size:           2
        .value_kind:     hidden_remainder_x
      - .offset:         52
        .size:           2
        .value_kind:     hidden_remainder_y
      - .offset:         54
        .size:           2
        .value_kind:     hidden_remainder_z
      - .offset:         72
        .size:           8
        .value_kind:     hidden_global_offset_x
      - .offset:         80
        .size:           8
        .value_kind:     hidden_global_offset_y
      - .offset:         88
        .size:           8
        .value_kind:     hidden_global_offset_z
      - .offset:         96
        .size:           2
        .value_kind:     hidden_grid_dims
    .group_segment_fixed_size: 0
    .kernarg_segment_align: 8
    .kernarg_segment_size: 288
    .language:       OpenCL C
    .language_version:
      - 2
      - 0
    .max_flat_workgroup_size: 1024
    .name:           _Z11fill_kernelIDF16_Z21hipblaslt_init_deviceIDF16_Ev8ABC_dims24hipblaslt_initializationbPT_mmmmmEUlmE5_EvS4_mmT0_
    .private_segment_fixed_size: 0
    .sgpr_count:     18
    .sgpr_spill_count: 0
    .symbol:         _Z11fill_kernelIDF16_Z21hipblaslt_init_deviceIDF16_Ev8ABC_dims24hipblaslt_initializationbPT_mmmmmEUlmE5_EvS4_mmT0_.kd
    .uniform_work_group_size: 1
    .uses_dynamic_stack: false
    .vgpr_count:     3
    .vgpr_spill_count: 0
    .wavefront_size: 32
    .workgroup_processor_mode: 1
  - .args:
      - .address_space:  global
        .offset:         0
        .size:           8
        .value_kind:     global_buffer
      - .offset:         8
        .size:           8
        .value_kind:     by_value
      - .offset:         16
        .size:           8
        .value_kind:     by_value
      - .offset:         24
        .size:           1
        .value_kind:     by_value
      - .offset:         32
        .size:           4
        .value_kind:     hidden_block_count_x
      - .offset:         36
        .size:           4
        .value_kind:     hidden_block_count_y
      - .offset:         40
        .size:           4
        .value_kind:     hidden_block_count_z
      - .offset:         44
        .size:           2
        .value_kind:     hidden_group_size_x
      - .offset:         46
        .size:           2
        .value_kind:     hidden_group_size_y
      - .offset:         48
        .size:           2
        .value_kind:     hidden_group_size_z
      - .offset:         50
        .size:           2
        .value_kind:     hidden_remainder_x
      - .offset:         52
        .size:           2
        .value_kind:     hidden_remainder_y
      - .offset:         54
        .size:           2
        .value_kind:     hidden_remainder_z
      - .offset:         72
        .size:           8
        .value_kind:     hidden_global_offset_x
      - .offset:         80
        .size:           8
        .value_kind:     hidden_global_offset_y
      - .offset:         88
        .size:           8
        .value_kind:     hidden_global_offset_z
      - .offset:         96
        .size:           2
        .value_kind:     hidden_grid_dims
    .group_segment_fixed_size: 0
    .kernarg_segment_align: 8
    .kernarg_segment_size: 288
    .language:       OpenCL C
    .language_version:
      - 2
      - 0
    .max_flat_workgroup_size: 1024
    .name:           _Z11fill_kernelIDF16_Z21hipblaslt_init_deviceIDF16_Ev8ABC_dims24hipblaslt_initializationbPT_mmmmmEUlmE6_EvS4_mmT0_
    .private_segment_fixed_size: 0
    .sgpr_count:     18
    .sgpr_spill_count: 0
    .symbol:         _Z11fill_kernelIDF16_Z21hipblaslt_init_deviceIDF16_Ev8ABC_dims24hipblaslt_initializationbPT_mmmmmEUlmE6_EvS4_mmT0_.kd
    .uniform_work_group_size: 1
    .uses_dynamic_stack: false
    .vgpr_count:     3
    .vgpr_spill_count: 0
    .wavefront_size: 32
    .workgroup_processor_mode: 1
  - .args:
      - .address_space:  global
        .offset:         0
        .size:           8
        .value_kind:     global_buffer
      - .offset:         8
        .size:           8
        .value_kind:     by_value
      - .offset:         16
        .size:           8
        .value_kind:     by_value
      - .offset:         24
        .size:           1
        .value_kind:     by_value
      - .offset:         32
        .size:           4
        .value_kind:     hidden_block_count_x
      - .offset:         36
        .size:           4
        .value_kind:     hidden_block_count_y
      - .offset:         40
        .size:           4
        .value_kind:     hidden_block_count_z
      - .offset:         44
        .size:           2
        .value_kind:     hidden_group_size_x
      - .offset:         46
        .size:           2
        .value_kind:     hidden_group_size_y
      - .offset:         48
        .size:           2
        .value_kind:     hidden_group_size_z
      - .offset:         50
        .size:           2
        .value_kind:     hidden_remainder_x
      - .offset:         52
        .size:           2
        .value_kind:     hidden_remainder_y
      - .offset:         54
        .size:           2
        .value_kind:     hidden_remainder_z
      - .offset:         72
        .size:           8
        .value_kind:     hidden_global_offset_x
      - .offset:         80
        .size:           8
        .value_kind:     hidden_global_offset_y
      - .offset:         88
        .size:           8
        .value_kind:     hidden_global_offset_z
      - .offset:         96
        .size:           2
        .value_kind:     hidden_grid_dims
    .group_segment_fixed_size: 0
    .kernarg_segment_align: 8
    .kernarg_segment_size: 288
    .language:       OpenCL C
    .language_version:
      - 2
      - 0
    .max_flat_workgroup_size: 1024
    .name:           _Z11fill_kernelIDF16_Z21hipblaslt_init_deviceIDF16_Ev8ABC_dims24hipblaslt_initializationbPT_mmmmmEUlmE7_EvS4_mmT0_
    .private_segment_fixed_size: 0
    .sgpr_count:     18
    .sgpr_spill_count: 0
    .symbol:         _Z11fill_kernelIDF16_Z21hipblaslt_init_deviceIDF16_Ev8ABC_dims24hipblaslt_initializationbPT_mmmmmEUlmE7_EvS4_mmT0_.kd
    .uniform_work_group_size: 1
    .uses_dynamic_stack: false
    .vgpr_count:     6
    .vgpr_spill_count: 0
    .wavefront_size: 32
    .workgroup_processor_mode: 1
  - .args:
      - .address_space:  global
        .offset:         0
        .size:           8
        .value_kind:     global_buffer
      - .offset:         8
        .size:           8
        .value_kind:     by_value
      - .offset:         16
        .size:           8
        .value_kind:     by_value
      - .offset:         24
        .size:           1
        .value_kind:     by_value
      - .offset:         32
        .size:           4
        .value_kind:     hidden_block_count_x
      - .offset:         36
        .size:           4
        .value_kind:     hidden_block_count_y
      - .offset:         40
        .size:           4
        .value_kind:     hidden_block_count_z
      - .offset:         44
        .size:           2
        .value_kind:     hidden_group_size_x
      - .offset:         46
        .size:           2
        .value_kind:     hidden_group_size_y
      - .offset:         48
        .size:           2
        .value_kind:     hidden_group_size_z
      - .offset:         50
        .size:           2
        .value_kind:     hidden_remainder_x
      - .offset:         52
        .size:           2
        .value_kind:     hidden_remainder_y
      - .offset:         54
        .size:           2
        .value_kind:     hidden_remainder_z
      - .offset:         72
        .size:           8
        .value_kind:     hidden_global_offset_x
      - .offset:         80
        .size:           8
        .value_kind:     hidden_global_offset_y
      - .offset:         88
        .size:           8
        .value_kind:     hidden_global_offset_z
      - .offset:         96
        .size:           2
        .value_kind:     hidden_grid_dims
    .group_segment_fixed_size: 0
    .kernarg_segment_align: 8
    .kernarg_segment_size: 288
    .language:       OpenCL C
    .language_version:
      - 2
      - 0
    .max_flat_workgroup_size: 1024
    .name:           _Z11fill_kernelIDF16_Z21hipblaslt_init_deviceIDF16_Ev8ABC_dims24hipblaslt_initializationbPT_mmmmmEUlmE8_EvS4_mmT0_
    .private_segment_fixed_size: 0
    .sgpr_count:     18
    .sgpr_spill_count: 0
    .symbol:         _Z11fill_kernelIDF16_Z21hipblaslt_init_deviceIDF16_Ev8ABC_dims24hipblaslt_initializationbPT_mmmmmEUlmE8_EvS4_mmT0_.kd
    .uniform_work_group_size: 1
    .uses_dynamic_stack: false
    .vgpr_count:     3
    .vgpr_spill_count: 0
    .wavefront_size: 32
    .workgroup_processor_mode: 1
  - .args:
      - .address_space:  global
        .offset:         0
        .size:           8
        .value_kind:     global_buffer
      - .offset:         8
        .size:           8
        .value_kind:     by_value
      - .offset:         16
        .size:           8
        .value_kind:     by_value
      - .offset:         24
        .size:           4
        .value_kind:     by_value
      - .offset:         32
        .size:           4
        .value_kind:     hidden_block_count_x
      - .offset:         36
        .size:           4
        .value_kind:     hidden_block_count_y
      - .offset:         40
        .size:           4
        .value_kind:     hidden_block_count_z
      - .offset:         44
        .size:           2
        .value_kind:     hidden_group_size_x
      - .offset:         46
        .size:           2
        .value_kind:     hidden_group_size_y
      - .offset:         48
        .size:           2
        .value_kind:     hidden_group_size_z
      - .offset:         50
        .size:           2
        .value_kind:     hidden_remainder_x
      - .offset:         52
        .size:           2
        .value_kind:     hidden_remainder_y
      - .offset:         54
        .size:           2
        .value_kind:     hidden_remainder_z
      - .offset:         72
        .size:           8
        .value_kind:     hidden_global_offset_x
      - .offset:         80
        .size:           8
        .value_kind:     hidden_global_offset_y
      - .offset:         88
        .size:           8
        .value_kind:     hidden_global_offset_z
      - .offset:         96
        .size:           2
        .value_kind:     hidden_grid_dims
    .group_segment_fixed_size: 0
    .kernarg_segment_align: 8
    .kernarg_segment_size: 288
    .language:       OpenCL C
    .language_version:
      - 2
      - 0
    .max_flat_workgroup_size: 1024
    .name:           _Z11fill_kernelIDF16_Z21hipblaslt_init_deviceIDF16_Ev8ABC_dims24hipblaslt_initializationbPT_mmmmmEUlmE9_EvS4_mmT0_
    .private_segment_fixed_size: 0
    .sgpr_count:     18
    .sgpr_spill_count: 0
    .symbol:         _Z11fill_kernelIDF16_Z21hipblaslt_init_deviceIDF16_Ev8ABC_dims24hipblaslt_initializationbPT_mmmmmEUlmE9_EvS4_mmT0_.kd
    .uniform_work_group_size: 1
    .uses_dynamic_stack: false
    .vgpr_count:     17
    .vgpr_spill_count: 0
    .wavefront_size: 32
    .workgroup_processor_mode: 1
  - .args:
      - .address_space:  global
        .offset:         0
        .size:           8
        .value_kind:     global_buffer
      - .offset:         8
        .size:           8
        .value_kind:     by_value
      - .offset:         16
        .size:           8
        .value_kind:     by_value
      - .offset:         24
        .size:           200
        .value_kind:     by_value
      - .offset:         224
        .size:           4
        .value_kind:     hidden_block_count_x
      - .offset:         228
        .size:           4
        .value_kind:     hidden_block_count_y
      - .offset:         232
        .size:           4
        .value_kind:     hidden_block_count_z
      - .offset:         236
        .size:           2
        .value_kind:     hidden_group_size_x
      - .offset:         238
        .size:           2
        .value_kind:     hidden_group_size_y
      - .offset:         240
        .size:           2
        .value_kind:     hidden_group_size_z
      - .offset:         242
        .size:           2
        .value_kind:     hidden_remainder_x
      - .offset:         244
        .size:           2
        .value_kind:     hidden_remainder_y
      - .offset:         246
        .size:           2
        .value_kind:     hidden_remainder_z
      - .offset:         264
        .size:           8
        .value_kind:     hidden_global_offset_x
      - .offset:         272
        .size:           8
        .value_kind:     hidden_global_offset_y
      - .offset:         280
        .size:           8
        .value_kind:     hidden_global_offset_z
      - .offset:         288
        .size:           2
        .value_kind:     hidden_grid_dims
    .group_segment_fixed_size: 0
    .kernarg_segment_align: 8
    .kernarg_segment_size: 480
    .language:       OpenCL C
    .language_version:
      - 2
      - 0
    .max_flat_workgroup_size: 1024
    .name:           _Z11fill_kernelI12hip_bfloat16Z21hipblaslt_init_deviceIS0_Ev8ABC_dims24hipblaslt_initializationbPT_mmmmmEUlmE_EvS5_mmT0_
    .private_segment_fixed_size: 0
    .sgpr_count:     18
    .sgpr_spill_count: 0
    .symbol:         _Z11fill_kernelI12hip_bfloat16Z21hipblaslt_init_deviceIS0_Ev8ABC_dims24hipblaslt_initializationbPT_mmmmmEUlmE_EvS5_mmT0_.kd
    .uniform_work_group_size: 1
    .uses_dynamic_stack: false
    .vgpr_count:     6
    .vgpr_spill_count: 0
    .wavefront_size: 32
    .workgroup_processor_mode: 1
  - .args:
      - .address_space:  global
        .offset:         0
        .size:           8
        .value_kind:     global_buffer
      - .offset:         8
        .size:           8
        .value_kind:     by_value
      - .offset:         16
        .size:           8
        .value_kind:     by_value
      - .offset:         24
        .size:           1
        .value_kind:     by_value
      - .offset:         32
        .size:           4
        .value_kind:     hidden_block_count_x
      - .offset:         36
        .size:           4
        .value_kind:     hidden_block_count_y
      - .offset:         40
        .size:           4
        .value_kind:     hidden_block_count_z
      - .offset:         44
        .size:           2
        .value_kind:     hidden_group_size_x
      - .offset:         46
        .size:           2
        .value_kind:     hidden_group_size_y
      - .offset:         48
        .size:           2
        .value_kind:     hidden_group_size_z
      - .offset:         50
        .size:           2
        .value_kind:     hidden_remainder_x
      - .offset:         52
        .size:           2
        .value_kind:     hidden_remainder_y
      - .offset:         54
        .size:           2
        .value_kind:     hidden_remainder_z
      - .offset:         72
        .size:           8
        .value_kind:     hidden_global_offset_x
      - .offset:         80
        .size:           8
        .value_kind:     hidden_global_offset_y
      - .offset:         88
        .size:           8
        .value_kind:     hidden_global_offset_z
      - .offset:         96
        .size:           2
        .value_kind:     hidden_grid_dims
    .group_segment_fixed_size: 0
    .kernarg_segment_align: 8
    .kernarg_segment_size: 288
    .language:       OpenCL C
    .language_version:
      - 2
      - 0
    .max_flat_workgroup_size: 1024
    .name:           _Z11fill_kernelI12hip_bfloat16Z21hipblaslt_init_deviceIS0_Ev8ABC_dims24hipblaslt_initializationbPT_mmmmmEUlmE0_EvS5_mmT0_
    .private_segment_fixed_size: 0
    .sgpr_count:     18
    .sgpr_spill_count: 0
    .symbol:         _Z11fill_kernelI12hip_bfloat16Z21hipblaslt_init_deviceIS0_Ev8ABC_dims24hipblaslt_initializationbPT_mmmmmEUlmE0_EvS5_mmT0_.kd
    .uniform_work_group_size: 1
    .uses_dynamic_stack: false
    .vgpr_count:     6
    .vgpr_spill_count: 0
    .wavefront_size: 32
    .workgroup_processor_mode: 1
  - .args:
      - .address_space:  global
        .offset:         0
        .size:           8
        .value_kind:     global_buffer
      - .offset:         8
        .size:           8
        .value_kind:     by_value
      - .offset:         16
        .size:           8
        .value_kind:     by_value
      - .offset:         24
        .size:           16
        .value_kind:     by_value
      - .offset:         40
        .size:           4
        .value_kind:     hidden_block_count_x
      - .offset:         44
        .size:           4
        .value_kind:     hidden_block_count_y
      - .offset:         48
        .size:           4
        .value_kind:     hidden_block_count_z
      - .offset:         52
        .size:           2
        .value_kind:     hidden_group_size_x
      - .offset:         54
        .size:           2
        .value_kind:     hidden_group_size_y
      - .offset:         56
        .size:           2
        .value_kind:     hidden_group_size_z
      - .offset:         58
        .size:           2
        .value_kind:     hidden_remainder_x
      - .offset:         60
        .size:           2
        .value_kind:     hidden_remainder_y
      - .offset:         62
        .size:           2
        .value_kind:     hidden_remainder_z
      - .offset:         80
        .size:           8
        .value_kind:     hidden_global_offset_x
      - .offset:         88
        .size:           8
        .value_kind:     hidden_global_offset_y
      - .offset:         96
        .size:           8
        .value_kind:     hidden_global_offset_z
      - .offset:         104
        .size:           2
        .value_kind:     hidden_grid_dims
    .group_segment_fixed_size: 0
    .kernarg_segment_align: 8
    .kernarg_segment_size: 296
    .language:       OpenCL C
    .language_version:
      - 2
      - 0
    .max_flat_workgroup_size: 1024
    .name:           _Z11fill_kernelI12hip_bfloat16Z21hipblaslt_init_deviceIS0_Ev8ABC_dims24hipblaslt_initializationbPT_mmmmmEUlmE1_EvS5_mmT0_
    .private_segment_fixed_size: 0
    .sgpr_count:     18
    .sgpr_spill_count: 0
    .symbol:         _Z11fill_kernelI12hip_bfloat16Z21hipblaslt_init_deviceIS0_Ev8ABC_dims24hipblaslt_initializationbPT_mmmmmEUlmE1_EvS5_mmT0_.kd
    .uniform_work_group_size: 1
    .uses_dynamic_stack: false
    .vgpr_count:     14
    .vgpr_spill_count: 0
    .wavefront_size: 32
    .workgroup_processor_mode: 1
  - .args:
      - .address_space:  global
        .offset:         0
        .size:           8
        .value_kind:     global_buffer
      - .offset:         8
        .size:           8
        .value_kind:     by_value
      - .offset:         16
        .size:           8
        .value_kind:     by_value
      - .offset:         24
        .size:           32
        .value_kind:     by_value
      - .offset:         56
        .size:           4
        .value_kind:     hidden_block_count_x
      - .offset:         60
        .size:           4
        .value_kind:     hidden_block_count_y
      - .offset:         64
        .size:           4
        .value_kind:     hidden_block_count_z
      - .offset:         68
        .size:           2
        .value_kind:     hidden_group_size_x
      - .offset:         70
        .size:           2
        .value_kind:     hidden_group_size_y
      - .offset:         72
        .size:           2
        .value_kind:     hidden_group_size_z
      - .offset:         74
        .size:           2
        .value_kind:     hidden_remainder_x
      - .offset:         76
        .size:           2
        .value_kind:     hidden_remainder_y
      - .offset:         78
        .size:           2
        .value_kind:     hidden_remainder_z
      - .offset:         96
        .size:           8
        .value_kind:     hidden_global_offset_x
      - .offset:         104
        .size:           8
        .value_kind:     hidden_global_offset_y
      - .offset:         112
        .size:           8
        .value_kind:     hidden_global_offset_z
      - .offset:         120
        .size:           2
        .value_kind:     hidden_grid_dims
    .group_segment_fixed_size: 0
    .kernarg_segment_align: 8
    .kernarg_segment_size: 312
    .language:       OpenCL C
    .language_version:
      - 2
      - 0
    .max_flat_workgroup_size: 1024
    .name:           _Z11fill_kernelI12hip_bfloat16Z21hipblaslt_init_deviceIS0_Ev8ABC_dims24hipblaslt_initializationbPT_mmmmmEUlmE2_EvS5_mmT0_
    .private_segment_fixed_size: 0
    .sgpr_count:     22
    .sgpr_spill_count: 0
    .symbol:         _Z11fill_kernelI12hip_bfloat16Z21hipblaslt_init_deviceIS0_Ev8ABC_dims24hipblaslt_initializationbPT_mmmmmEUlmE2_EvS5_mmT0_.kd
    .uniform_work_group_size: 1
    .uses_dynamic_stack: false
    .vgpr_count:     33
    .vgpr_spill_count: 0
    .wavefront_size: 32
    .workgroup_processor_mode: 1
  - .args:
      - .address_space:  global
        .offset:         0
        .size:           8
        .value_kind:     global_buffer
      - .offset:         8
        .size:           8
        .value_kind:     by_value
      - .offset:         16
        .size:           8
        .value_kind:     by_value
      - .offset:         24
        .size:           32
        .value_kind:     by_value
      - .offset:         56
        .size:           4
        .value_kind:     hidden_block_count_x
      - .offset:         60
        .size:           4
        .value_kind:     hidden_block_count_y
      - .offset:         64
        .size:           4
        .value_kind:     hidden_block_count_z
      - .offset:         68
        .size:           2
        .value_kind:     hidden_group_size_x
      - .offset:         70
        .size:           2
        .value_kind:     hidden_group_size_y
      - .offset:         72
        .size:           2
        .value_kind:     hidden_group_size_z
      - .offset:         74
        .size:           2
        .value_kind:     hidden_remainder_x
      - .offset:         76
        .size:           2
        .value_kind:     hidden_remainder_y
      - .offset:         78
        .size:           2
        .value_kind:     hidden_remainder_z
      - .offset:         96
        .size:           8
        .value_kind:     hidden_global_offset_x
      - .offset:         104
        .size:           8
        .value_kind:     hidden_global_offset_y
      - .offset:         112
        .size:           8
        .value_kind:     hidden_global_offset_z
      - .offset:         120
        .size:           2
        .value_kind:     hidden_grid_dims
    .group_segment_fixed_size: 0
    .kernarg_segment_align: 8
    .kernarg_segment_size: 312
    .language:       OpenCL C
    .language_version:
      - 2
      - 0
    .max_flat_workgroup_size: 1024
    .name:           _Z11fill_kernelI12hip_bfloat16Z21hipblaslt_init_deviceIS0_Ev8ABC_dims24hipblaslt_initializationbPT_mmmmmEUlmE3_EvS5_mmT0_
    .private_segment_fixed_size: 0
    .sgpr_count:     22
    .sgpr_spill_count: 0
    .symbol:         _Z11fill_kernelI12hip_bfloat16Z21hipblaslt_init_deviceIS0_Ev8ABC_dims24hipblaslt_initializationbPT_mmmmmEUlmE3_EvS5_mmT0_.kd
    .uniform_work_group_size: 1
    .uses_dynamic_stack: false
    .vgpr_count:     33
    .vgpr_spill_count: 0
    .wavefront_size: 32
    .workgroup_processor_mode: 1
  - .args:
      - .address_space:  global
        .offset:         0
        .size:           8
        .value_kind:     global_buffer
      - .offset:         8
        .size:           8
        .value_kind:     by_value
      - .offset:         16
        .size:           8
        .value_kind:     by_value
      - .offset:         24
        .size:           1
        .value_kind:     by_value
      - .offset:         32
        .size:           4
        .value_kind:     hidden_block_count_x
      - .offset:         36
        .size:           4
        .value_kind:     hidden_block_count_y
      - .offset:         40
        .size:           4
        .value_kind:     hidden_block_count_z
      - .offset:         44
        .size:           2
        .value_kind:     hidden_group_size_x
      - .offset:         46
        .size:           2
        .value_kind:     hidden_group_size_y
      - .offset:         48
        .size:           2
        .value_kind:     hidden_group_size_z
      - .offset:         50
        .size:           2
        .value_kind:     hidden_remainder_x
      - .offset:         52
        .size:           2
        .value_kind:     hidden_remainder_y
      - .offset:         54
        .size:           2
        .value_kind:     hidden_remainder_z
      - .offset:         72
        .size:           8
        .value_kind:     hidden_global_offset_x
      - .offset:         80
        .size:           8
        .value_kind:     hidden_global_offset_y
      - .offset:         88
        .size:           8
        .value_kind:     hidden_global_offset_z
      - .offset:         96
        .size:           2
        .value_kind:     hidden_grid_dims
    .group_segment_fixed_size: 0
    .kernarg_segment_align: 8
    .kernarg_segment_size: 288
    .language:       OpenCL C
    .language_version:
      - 2
      - 0
    .max_flat_workgroup_size: 1024
    .name:           _Z11fill_kernelI12hip_bfloat16Z21hipblaslt_init_deviceIS0_Ev8ABC_dims24hipblaslt_initializationbPT_mmmmmEUlmE4_EvS5_mmT0_
    .private_segment_fixed_size: 0
    .sgpr_count:     18
    .sgpr_spill_count: 0
    .symbol:         _Z11fill_kernelI12hip_bfloat16Z21hipblaslt_init_deviceIS0_Ev8ABC_dims24hipblaslt_initializationbPT_mmmmmEUlmE4_EvS5_mmT0_.kd
    .uniform_work_group_size: 1
    .uses_dynamic_stack: false
    .vgpr_count:     12
    .vgpr_spill_count: 0
    .wavefront_size: 32
    .workgroup_processor_mode: 1
  - .args:
      - .address_space:  global
        .offset:         0
        .size:           8
        .value_kind:     global_buffer
      - .offset:         8
        .size:           8
        .value_kind:     by_value
      - .offset:         16
        .size:           8
        .value_kind:     by_value
      - .offset:         24
        .size:           1
        .value_kind:     by_value
      - .offset:         32
        .size:           4
        .value_kind:     hidden_block_count_x
      - .offset:         36
        .size:           4
        .value_kind:     hidden_block_count_y
      - .offset:         40
        .size:           4
        .value_kind:     hidden_block_count_z
      - .offset:         44
        .size:           2
        .value_kind:     hidden_group_size_x
      - .offset:         46
        .size:           2
        .value_kind:     hidden_group_size_y
      - .offset:         48
        .size:           2
        .value_kind:     hidden_group_size_z
      - .offset:         50
        .size:           2
        .value_kind:     hidden_remainder_x
      - .offset:         52
        .size:           2
        .value_kind:     hidden_remainder_y
      - .offset:         54
        .size:           2
        .value_kind:     hidden_remainder_z
      - .offset:         72
        .size:           8
        .value_kind:     hidden_global_offset_x
      - .offset:         80
        .size:           8
        .value_kind:     hidden_global_offset_y
      - .offset:         88
        .size:           8
        .value_kind:     hidden_global_offset_z
      - .offset:         96
        .size:           2
        .value_kind:     hidden_grid_dims
    .group_segment_fixed_size: 0
    .kernarg_segment_align: 8
    .kernarg_segment_size: 288
    .language:       OpenCL C
    .language_version:
      - 2
      - 0
    .max_flat_workgroup_size: 1024
    .name:           _Z11fill_kernelI12hip_bfloat16Z21hipblaslt_init_deviceIS0_Ev8ABC_dims24hipblaslt_initializationbPT_mmmmmEUlmE5_EvS5_mmT0_
    .private_segment_fixed_size: 0
    .sgpr_count:     18
    .sgpr_spill_count: 0
    .symbol:         _Z11fill_kernelI12hip_bfloat16Z21hipblaslt_init_deviceIS0_Ev8ABC_dims24hipblaslt_initializationbPT_mmmmmEUlmE5_EvS5_mmT0_.kd
    .uniform_work_group_size: 1
    .uses_dynamic_stack: false
    .vgpr_count:     3
    .vgpr_spill_count: 0
    .wavefront_size: 32
    .workgroup_processor_mode: 1
  - .args:
      - .address_space:  global
        .offset:         0
        .size:           8
        .value_kind:     global_buffer
      - .offset:         8
        .size:           8
        .value_kind:     by_value
      - .offset:         16
        .size:           8
        .value_kind:     by_value
      - .offset:         24
        .size:           1
        .value_kind:     by_value
      - .offset:         32
        .size:           4
        .value_kind:     hidden_block_count_x
      - .offset:         36
        .size:           4
        .value_kind:     hidden_block_count_y
      - .offset:         40
        .size:           4
        .value_kind:     hidden_block_count_z
      - .offset:         44
        .size:           2
        .value_kind:     hidden_group_size_x
      - .offset:         46
        .size:           2
        .value_kind:     hidden_group_size_y
      - .offset:         48
        .size:           2
        .value_kind:     hidden_group_size_z
      - .offset:         50
        .size:           2
        .value_kind:     hidden_remainder_x
      - .offset:         52
        .size:           2
        .value_kind:     hidden_remainder_y
      - .offset:         54
        .size:           2
        .value_kind:     hidden_remainder_z
      - .offset:         72
        .size:           8
        .value_kind:     hidden_global_offset_x
      - .offset:         80
        .size:           8
        .value_kind:     hidden_global_offset_y
      - .offset:         88
        .size:           8
        .value_kind:     hidden_global_offset_z
      - .offset:         96
        .size:           2
        .value_kind:     hidden_grid_dims
    .group_segment_fixed_size: 0
    .kernarg_segment_align: 8
    .kernarg_segment_size: 288
    .language:       OpenCL C
    .language_version:
      - 2
      - 0
    .max_flat_workgroup_size: 1024
    .name:           _Z11fill_kernelI12hip_bfloat16Z21hipblaslt_init_deviceIS0_Ev8ABC_dims24hipblaslt_initializationbPT_mmmmmEUlmE6_EvS5_mmT0_
    .private_segment_fixed_size: 0
    .sgpr_count:     18
    .sgpr_spill_count: 0
    .symbol:         _Z11fill_kernelI12hip_bfloat16Z21hipblaslt_init_deviceIS0_Ev8ABC_dims24hipblaslt_initializationbPT_mmmmmEUlmE6_EvS5_mmT0_.kd
    .uniform_work_group_size: 1
    .uses_dynamic_stack: false
    .vgpr_count:     3
    .vgpr_spill_count: 0
    .wavefront_size: 32
    .workgroup_processor_mode: 1
  - .args:
      - .address_space:  global
        .offset:         0
        .size:           8
        .value_kind:     global_buffer
      - .offset:         8
        .size:           8
        .value_kind:     by_value
      - .offset:         16
        .size:           8
        .value_kind:     by_value
      - .offset:         24
        .size:           1
        .value_kind:     by_value
      - .offset:         32
        .size:           4
        .value_kind:     hidden_block_count_x
      - .offset:         36
        .size:           4
        .value_kind:     hidden_block_count_y
      - .offset:         40
        .size:           4
        .value_kind:     hidden_block_count_z
      - .offset:         44
        .size:           2
        .value_kind:     hidden_group_size_x
      - .offset:         46
        .size:           2
        .value_kind:     hidden_group_size_y
      - .offset:         48
        .size:           2
        .value_kind:     hidden_group_size_z
      - .offset:         50
        .size:           2
        .value_kind:     hidden_remainder_x
      - .offset:         52
        .size:           2
        .value_kind:     hidden_remainder_y
      - .offset:         54
        .size:           2
        .value_kind:     hidden_remainder_z
      - .offset:         72
        .size:           8
        .value_kind:     hidden_global_offset_x
      - .offset:         80
        .size:           8
        .value_kind:     hidden_global_offset_y
      - .offset:         88
        .size:           8
        .value_kind:     hidden_global_offset_z
      - .offset:         96
        .size:           2
        .value_kind:     hidden_grid_dims
    .group_segment_fixed_size: 0
    .kernarg_segment_align: 8
    .kernarg_segment_size: 288
    .language:       OpenCL C
    .language_version:
      - 2
      - 0
    .max_flat_workgroup_size: 1024
    .name:           _Z11fill_kernelI12hip_bfloat16Z21hipblaslt_init_deviceIS0_Ev8ABC_dims24hipblaslt_initializationbPT_mmmmmEUlmE7_EvS5_mmT0_
    .private_segment_fixed_size: 0
    .sgpr_count:     18
    .sgpr_spill_count: 0
    .symbol:         _Z11fill_kernelI12hip_bfloat16Z21hipblaslt_init_deviceIS0_Ev8ABC_dims24hipblaslt_initializationbPT_mmmmmEUlmE7_EvS5_mmT0_.kd
    .uniform_work_group_size: 1
    .uses_dynamic_stack: false
    .vgpr_count:     6
    .vgpr_spill_count: 0
    .wavefront_size: 32
    .workgroup_processor_mode: 1
  - .args:
      - .address_space:  global
        .offset:         0
        .size:           8
        .value_kind:     global_buffer
      - .offset:         8
        .size:           8
        .value_kind:     by_value
      - .offset:         16
        .size:           8
        .value_kind:     by_value
      - .offset:         24
        .size:           1
        .value_kind:     by_value
      - .offset:         32
        .size:           4
        .value_kind:     hidden_block_count_x
      - .offset:         36
        .size:           4
        .value_kind:     hidden_block_count_y
      - .offset:         40
        .size:           4
        .value_kind:     hidden_block_count_z
      - .offset:         44
        .size:           2
        .value_kind:     hidden_group_size_x
      - .offset:         46
        .size:           2
        .value_kind:     hidden_group_size_y
      - .offset:         48
        .size:           2
        .value_kind:     hidden_group_size_z
      - .offset:         50
        .size:           2
        .value_kind:     hidden_remainder_x
      - .offset:         52
        .size:           2
        .value_kind:     hidden_remainder_y
      - .offset:         54
        .size:           2
        .value_kind:     hidden_remainder_z
      - .offset:         72
        .size:           8
        .value_kind:     hidden_global_offset_x
      - .offset:         80
        .size:           8
        .value_kind:     hidden_global_offset_y
      - .offset:         88
        .size:           8
        .value_kind:     hidden_global_offset_z
      - .offset:         96
        .size:           2
        .value_kind:     hidden_grid_dims
    .group_segment_fixed_size: 0
    .kernarg_segment_align: 8
    .kernarg_segment_size: 288
    .language:       OpenCL C
    .language_version:
      - 2
      - 0
    .max_flat_workgroup_size: 1024
    .name:           _Z11fill_kernelI12hip_bfloat16Z21hipblaslt_init_deviceIS0_Ev8ABC_dims24hipblaslt_initializationbPT_mmmmmEUlmE8_EvS5_mmT0_
    .private_segment_fixed_size: 0
    .sgpr_count:     18
    .sgpr_spill_count: 0
    .symbol:         _Z11fill_kernelI12hip_bfloat16Z21hipblaslt_init_deviceIS0_Ev8ABC_dims24hipblaslt_initializationbPT_mmmmmEUlmE8_EvS5_mmT0_.kd
    .uniform_work_group_size: 1
    .uses_dynamic_stack: false
    .vgpr_count:     3
    .vgpr_spill_count: 0
    .wavefront_size: 32
    .workgroup_processor_mode: 1
  - .args:
      - .address_space:  global
        .offset:         0
        .size:           8
        .value_kind:     global_buffer
      - .offset:         8
        .size:           8
        .value_kind:     by_value
      - .offset:         16
        .size:           8
        .value_kind:     by_value
      - .offset:         24
        .size:           4
        .value_kind:     by_value
      - .offset:         32
        .size:           4
        .value_kind:     hidden_block_count_x
      - .offset:         36
        .size:           4
        .value_kind:     hidden_block_count_y
      - .offset:         40
        .size:           4
        .value_kind:     hidden_block_count_z
      - .offset:         44
        .size:           2
        .value_kind:     hidden_group_size_x
      - .offset:         46
        .size:           2
        .value_kind:     hidden_group_size_y
      - .offset:         48
        .size:           2
        .value_kind:     hidden_group_size_z
      - .offset:         50
        .size:           2
        .value_kind:     hidden_remainder_x
      - .offset:         52
        .size:           2
        .value_kind:     hidden_remainder_y
      - .offset:         54
        .size:           2
        .value_kind:     hidden_remainder_z
      - .offset:         72
        .size:           8
        .value_kind:     hidden_global_offset_x
      - .offset:         80
        .size:           8
        .value_kind:     hidden_global_offset_y
      - .offset:         88
        .size:           8
        .value_kind:     hidden_global_offset_z
      - .offset:         96
        .size:           2
        .value_kind:     hidden_grid_dims
    .group_segment_fixed_size: 0
    .kernarg_segment_align: 8
    .kernarg_segment_size: 288
    .language:       OpenCL C
    .language_version:
      - 2
      - 0
    .max_flat_workgroup_size: 1024
    .name:           _Z11fill_kernelI12hip_bfloat16Z21hipblaslt_init_deviceIS0_Ev8ABC_dims24hipblaslt_initializationbPT_mmmmmEUlmE9_EvS5_mmT0_
    .private_segment_fixed_size: 0
    .sgpr_count:     18
    .sgpr_spill_count: 0
    .symbol:         _Z11fill_kernelI12hip_bfloat16Z21hipblaslt_init_deviceIS0_Ev8ABC_dims24hipblaslt_initializationbPT_mmmmmEUlmE9_EvS5_mmT0_.kd
    .uniform_work_group_size: 1
    .uses_dynamic_stack: false
    .vgpr_count:     17
    .vgpr_spill_count: 0
    .wavefront_size: 32
    .workgroup_processor_mode: 1
  - .args:
      - .address_space:  global
        .offset:         0
        .size:           8
        .value_kind:     global_buffer
      - .offset:         8
        .size:           8
        .value_kind:     by_value
      - .offset:         16
        .size:           8
        .value_kind:     by_value
      - .offset:         24
        .size:           100
        .value_kind:     by_value
      - .offset:         128
        .size:           4
        .value_kind:     hidden_block_count_x
      - .offset:         132
        .size:           4
        .value_kind:     hidden_block_count_y
      - .offset:         136
        .size:           4
        .value_kind:     hidden_block_count_z
      - .offset:         140
        .size:           2
        .value_kind:     hidden_group_size_x
      - .offset:         142
        .size:           2
        .value_kind:     hidden_group_size_y
      - .offset:         144
        .size:           2
        .value_kind:     hidden_group_size_z
      - .offset:         146
        .size:           2
        .value_kind:     hidden_remainder_x
      - .offset:         148
        .size:           2
        .value_kind:     hidden_remainder_y
      - .offset:         150
        .size:           2
        .value_kind:     hidden_remainder_z
      - .offset:         168
        .size:           8
        .value_kind:     hidden_global_offset_x
      - .offset:         176
        .size:           8
        .value_kind:     hidden_global_offset_y
      - .offset:         184
        .size:           8
        .value_kind:     hidden_global_offset_z
      - .offset:         192
        .size:           2
        .value_kind:     hidden_grid_dims
    .group_segment_fixed_size: 0
    .kernarg_segment_align: 8
    .kernarg_segment_size: 384
    .language:       OpenCL C
    .language_version:
      - 2
      - 0
    .max_flat_workgroup_size: 1024
    .name:           _Z11fill_kernelI17hipblaslt_f8_fnuzZ21hipblaslt_init_deviceIS0_Ev8ABC_dims24hipblaslt_initializationbPT_mmmmmEUlmE_EvS5_mmT0_
    .private_segment_fixed_size: 0
    .sgpr_count:     18
    .sgpr_spill_count: 0
    .symbol:         _Z11fill_kernelI17hipblaslt_f8_fnuzZ21hipblaslt_init_deviceIS0_Ev8ABC_dims24hipblaslt_initializationbPT_mmmmmEUlmE_EvS5_mmT0_.kd
    .uniform_work_group_size: 1
    .uses_dynamic_stack: false
    .vgpr_count:     6
    .vgpr_spill_count: 0
    .wavefront_size: 32
    .workgroup_processor_mode: 1
  - .args:
      - .address_space:  global
        .offset:         0
        .size:           8
        .value_kind:     global_buffer
      - .offset:         8
        .size:           8
        .value_kind:     by_value
      - .offset:         16
        .size:           8
        .value_kind:     by_value
      - .offset:         24
        .size:           1
        .value_kind:     by_value
      - .offset:         32
        .size:           4
        .value_kind:     hidden_block_count_x
      - .offset:         36
        .size:           4
        .value_kind:     hidden_block_count_y
      - .offset:         40
        .size:           4
        .value_kind:     hidden_block_count_z
      - .offset:         44
        .size:           2
        .value_kind:     hidden_group_size_x
      - .offset:         46
        .size:           2
        .value_kind:     hidden_group_size_y
      - .offset:         48
        .size:           2
        .value_kind:     hidden_group_size_z
      - .offset:         50
        .size:           2
        .value_kind:     hidden_remainder_x
      - .offset:         52
        .size:           2
        .value_kind:     hidden_remainder_y
      - .offset:         54
        .size:           2
        .value_kind:     hidden_remainder_z
      - .offset:         72
        .size:           8
        .value_kind:     hidden_global_offset_x
      - .offset:         80
        .size:           8
        .value_kind:     hidden_global_offset_y
      - .offset:         88
        .size:           8
        .value_kind:     hidden_global_offset_z
      - .offset:         96
        .size:           2
        .value_kind:     hidden_grid_dims
    .group_segment_fixed_size: 0
    .kernarg_segment_align: 8
    .kernarg_segment_size: 288
    .language:       OpenCL C
    .language_version:
      - 2
      - 0
    .max_flat_workgroup_size: 1024
    .name:           _Z11fill_kernelI17hipblaslt_f8_fnuzZ21hipblaslt_init_deviceIS0_Ev8ABC_dims24hipblaslt_initializationbPT_mmmmmEUlmE0_EvS5_mmT0_
    .private_segment_fixed_size: 0
    .sgpr_count:     18
    .sgpr_spill_count: 0
    .symbol:         _Z11fill_kernelI17hipblaslt_f8_fnuzZ21hipblaslt_init_deviceIS0_Ev8ABC_dims24hipblaslt_initializationbPT_mmmmmEUlmE0_EvS5_mmT0_.kd
    .uniform_work_group_size: 1
    .uses_dynamic_stack: false
    .vgpr_count:     12
    .vgpr_spill_count: 0
    .wavefront_size: 32
    .workgroup_processor_mode: 1
  - .args:
      - .address_space:  global
        .offset:         0
        .size:           8
        .value_kind:     global_buffer
      - .offset:         8
        .size:           8
        .value_kind:     by_value
      - .offset:         16
        .size:           8
        .value_kind:     by_value
      - .offset:         24
        .size:           16
        .value_kind:     by_value
      - .offset:         40
        .size:           4
        .value_kind:     hidden_block_count_x
      - .offset:         44
        .size:           4
        .value_kind:     hidden_block_count_y
      - .offset:         48
        .size:           4
        .value_kind:     hidden_block_count_z
      - .offset:         52
        .size:           2
        .value_kind:     hidden_group_size_x
      - .offset:         54
        .size:           2
        .value_kind:     hidden_group_size_y
      - .offset:         56
        .size:           2
        .value_kind:     hidden_group_size_z
      - .offset:         58
        .size:           2
        .value_kind:     hidden_remainder_x
      - .offset:         60
        .size:           2
        .value_kind:     hidden_remainder_y
      - .offset:         62
        .size:           2
        .value_kind:     hidden_remainder_z
      - .offset:         80
        .size:           8
        .value_kind:     hidden_global_offset_x
      - .offset:         88
        .size:           8
        .value_kind:     hidden_global_offset_y
      - .offset:         96
        .size:           8
        .value_kind:     hidden_global_offset_z
      - .offset:         104
        .size:           2
        .value_kind:     hidden_grid_dims
    .group_segment_fixed_size: 0
    .kernarg_segment_align: 8
    .kernarg_segment_size: 296
    .language:       OpenCL C
    .language_version:
      - 2
      - 0
    .max_flat_workgroup_size: 1024
    .name:           _Z11fill_kernelI17hipblaslt_f8_fnuzZ21hipblaslt_init_deviceIS0_Ev8ABC_dims24hipblaslt_initializationbPT_mmmmmEUlmE1_EvS5_mmT0_
    .private_segment_fixed_size: 0
    .sgpr_count:     18
    .sgpr_spill_count: 0
    .symbol:         _Z11fill_kernelI17hipblaslt_f8_fnuzZ21hipblaslt_init_deviceIS0_Ev8ABC_dims24hipblaslt_initializationbPT_mmmmmEUlmE1_EvS5_mmT0_.kd
    .uniform_work_group_size: 1
    .uses_dynamic_stack: false
    .vgpr_count:     14
    .vgpr_spill_count: 0
    .wavefront_size: 32
    .workgroup_processor_mode: 1
  - .args:
      - .address_space:  global
        .offset:         0
        .size:           8
        .value_kind:     global_buffer
      - .offset:         8
        .size:           8
        .value_kind:     by_value
      - .offset:         16
        .size:           8
        .value_kind:     by_value
      - .offset:         24
        .size:           32
        .value_kind:     by_value
      - .offset:         56
        .size:           4
        .value_kind:     hidden_block_count_x
      - .offset:         60
        .size:           4
        .value_kind:     hidden_block_count_y
      - .offset:         64
        .size:           4
        .value_kind:     hidden_block_count_z
      - .offset:         68
        .size:           2
        .value_kind:     hidden_group_size_x
      - .offset:         70
        .size:           2
        .value_kind:     hidden_group_size_y
      - .offset:         72
        .size:           2
        .value_kind:     hidden_group_size_z
      - .offset:         74
        .size:           2
        .value_kind:     hidden_remainder_x
      - .offset:         76
        .size:           2
        .value_kind:     hidden_remainder_y
      - .offset:         78
        .size:           2
        .value_kind:     hidden_remainder_z
      - .offset:         96
        .size:           8
        .value_kind:     hidden_global_offset_x
      - .offset:         104
        .size:           8
        .value_kind:     hidden_global_offset_y
      - .offset:         112
        .size:           8
        .value_kind:     hidden_global_offset_z
      - .offset:         120
        .size:           2
        .value_kind:     hidden_grid_dims
    .group_segment_fixed_size: 0
    .kernarg_segment_align: 8
    .kernarg_segment_size: 312
    .language:       OpenCL C
    .language_version:
      - 2
      - 0
    .max_flat_workgroup_size: 1024
    .name:           _Z11fill_kernelI17hipblaslt_f8_fnuzZ21hipblaslt_init_deviceIS0_Ev8ABC_dims24hipblaslt_initializationbPT_mmmmmEUlmE2_EvS5_mmT0_
    .private_segment_fixed_size: 0
    .sgpr_count:     22
    .sgpr_spill_count: 0
    .symbol:         _Z11fill_kernelI17hipblaslt_f8_fnuzZ21hipblaslt_init_deviceIS0_Ev8ABC_dims24hipblaslt_initializationbPT_mmmmmEUlmE2_EvS5_mmT0_.kd
    .uniform_work_group_size: 1
    .uses_dynamic_stack: false
    .vgpr_count:     33
    .vgpr_spill_count: 0
    .wavefront_size: 32
    .workgroup_processor_mode: 1
  - .args:
      - .address_space:  global
        .offset:         0
        .size:           8
        .value_kind:     global_buffer
      - .offset:         8
        .size:           8
        .value_kind:     by_value
      - .offset:         16
        .size:           8
        .value_kind:     by_value
      - .offset:         24
        .size:           32
        .value_kind:     by_value
      - .offset:         56
        .size:           4
        .value_kind:     hidden_block_count_x
      - .offset:         60
        .size:           4
        .value_kind:     hidden_block_count_y
      - .offset:         64
        .size:           4
        .value_kind:     hidden_block_count_z
      - .offset:         68
        .size:           2
        .value_kind:     hidden_group_size_x
      - .offset:         70
        .size:           2
        .value_kind:     hidden_group_size_y
      - .offset:         72
        .size:           2
        .value_kind:     hidden_group_size_z
      - .offset:         74
        .size:           2
        .value_kind:     hidden_remainder_x
      - .offset:         76
        .size:           2
        .value_kind:     hidden_remainder_y
      - .offset:         78
        .size:           2
        .value_kind:     hidden_remainder_z
      - .offset:         96
        .size:           8
        .value_kind:     hidden_global_offset_x
      - .offset:         104
        .size:           8
        .value_kind:     hidden_global_offset_y
      - .offset:         112
        .size:           8
        .value_kind:     hidden_global_offset_z
      - .offset:         120
        .size:           2
        .value_kind:     hidden_grid_dims
    .group_segment_fixed_size: 0
    .kernarg_segment_align: 8
    .kernarg_segment_size: 312
    .language:       OpenCL C
    .language_version:
      - 2
      - 0
    .max_flat_workgroup_size: 1024
    .name:           _Z11fill_kernelI17hipblaslt_f8_fnuzZ21hipblaslt_init_deviceIS0_Ev8ABC_dims24hipblaslt_initializationbPT_mmmmmEUlmE3_EvS5_mmT0_
    .private_segment_fixed_size: 0
    .sgpr_count:     22
    .sgpr_spill_count: 0
    .symbol:         _Z11fill_kernelI17hipblaslt_f8_fnuzZ21hipblaslt_init_deviceIS0_Ev8ABC_dims24hipblaslt_initializationbPT_mmmmmEUlmE3_EvS5_mmT0_.kd
    .uniform_work_group_size: 1
    .uses_dynamic_stack: false
    .vgpr_count:     33
    .vgpr_spill_count: 0
    .wavefront_size: 32
    .workgroup_processor_mode: 1
  - .args:
      - .address_space:  global
        .offset:         0
        .size:           8
        .value_kind:     global_buffer
      - .offset:         8
        .size:           8
        .value_kind:     by_value
      - .offset:         16
        .size:           8
        .value_kind:     by_value
      - .offset:         24
        .size:           1
        .value_kind:     by_value
      - .offset:         32
        .size:           4
        .value_kind:     hidden_block_count_x
      - .offset:         36
        .size:           4
        .value_kind:     hidden_block_count_y
      - .offset:         40
        .size:           4
        .value_kind:     hidden_block_count_z
      - .offset:         44
        .size:           2
        .value_kind:     hidden_group_size_x
      - .offset:         46
        .size:           2
        .value_kind:     hidden_group_size_y
      - .offset:         48
        .size:           2
        .value_kind:     hidden_group_size_z
      - .offset:         50
        .size:           2
        .value_kind:     hidden_remainder_x
      - .offset:         52
        .size:           2
        .value_kind:     hidden_remainder_y
      - .offset:         54
        .size:           2
        .value_kind:     hidden_remainder_z
      - .offset:         72
        .size:           8
        .value_kind:     hidden_global_offset_x
      - .offset:         80
        .size:           8
        .value_kind:     hidden_global_offset_y
      - .offset:         88
        .size:           8
        .value_kind:     hidden_global_offset_z
      - .offset:         96
        .size:           2
        .value_kind:     hidden_grid_dims
    .group_segment_fixed_size: 0
    .kernarg_segment_align: 8
    .kernarg_segment_size: 288
    .language:       OpenCL C
    .language_version:
      - 2
      - 0
    .max_flat_workgroup_size: 1024
    .name:           _Z11fill_kernelI17hipblaslt_f8_fnuzZ21hipblaslt_init_deviceIS0_Ev8ABC_dims24hipblaslt_initializationbPT_mmmmmEUlmE4_EvS5_mmT0_
    .private_segment_fixed_size: 0
    .sgpr_count:     18
    .sgpr_spill_count: 0
    .symbol:         _Z11fill_kernelI17hipblaslt_f8_fnuzZ21hipblaslt_init_deviceIS0_Ev8ABC_dims24hipblaslt_initializationbPT_mmmmmEUlmE4_EvS5_mmT0_.kd
    .uniform_work_group_size: 1
    .uses_dynamic_stack: false
    .vgpr_count:     16
    .vgpr_spill_count: 0
    .wavefront_size: 32
    .workgroup_processor_mode: 1
  - .args:
      - .address_space:  global
        .offset:         0
        .size:           8
        .value_kind:     global_buffer
      - .offset:         8
        .size:           8
        .value_kind:     by_value
      - .offset:         16
        .size:           8
        .value_kind:     by_value
      - .offset:         24
        .size:           1
        .value_kind:     by_value
      - .offset:         32
        .size:           4
        .value_kind:     hidden_block_count_x
      - .offset:         36
        .size:           4
        .value_kind:     hidden_block_count_y
      - .offset:         40
        .size:           4
        .value_kind:     hidden_block_count_z
      - .offset:         44
        .size:           2
        .value_kind:     hidden_group_size_x
      - .offset:         46
        .size:           2
        .value_kind:     hidden_group_size_y
      - .offset:         48
        .size:           2
        .value_kind:     hidden_group_size_z
      - .offset:         50
        .size:           2
        .value_kind:     hidden_remainder_x
      - .offset:         52
        .size:           2
        .value_kind:     hidden_remainder_y
      - .offset:         54
        .size:           2
        .value_kind:     hidden_remainder_z
      - .offset:         72
        .size:           8
        .value_kind:     hidden_global_offset_x
      - .offset:         80
        .size:           8
        .value_kind:     hidden_global_offset_y
      - .offset:         88
        .size:           8
        .value_kind:     hidden_global_offset_z
      - .offset:         96
        .size:           2
        .value_kind:     hidden_grid_dims
    .group_segment_fixed_size: 0
    .kernarg_segment_align: 8
    .kernarg_segment_size: 288
    .language:       OpenCL C
    .language_version:
      - 2
      - 0
    .max_flat_workgroup_size: 1024
    .name:           _Z11fill_kernelI17hipblaslt_f8_fnuzZ21hipblaslt_init_deviceIS0_Ev8ABC_dims24hipblaslt_initializationbPT_mmmmmEUlmE5_EvS5_mmT0_
    .private_segment_fixed_size: 0
    .sgpr_count:     16
    .sgpr_spill_count: 0
    .symbol:         _Z11fill_kernelI17hipblaslt_f8_fnuzZ21hipblaslt_init_deviceIS0_Ev8ABC_dims24hipblaslt_initializationbPT_mmmmmEUlmE5_EvS5_mmT0_.kd
    .uniform_work_group_size: 1
    .uses_dynamic_stack: false
    .vgpr_count:     3
    .vgpr_spill_count: 0
    .wavefront_size: 32
    .workgroup_processor_mode: 1
  - .args:
      - .address_space:  global
        .offset:         0
        .size:           8
        .value_kind:     global_buffer
      - .offset:         8
        .size:           8
        .value_kind:     by_value
      - .offset:         16
        .size:           8
        .value_kind:     by_value
      - .offset:         24
        .size:           1
        .value_kind:     by_value
      - .offset:         32
        .size:           4
        .value_kind:     hidden_block_count_x
      - .offset:         36
        .size:           4
        .value_kind:     hidden_block_count_y
      - .offset:         40
        .size:           4
        .value_kind:     hidden_block_count_z
      - .offset:         44
        .size:           2
        .value_kind:     hidden_group_size_x
      - .offset:         46
        .size:           2
        .value_kind:     hidden_group_size_y
      - .offset:         48
        .size:           2
        .value_kind:     hidden_group_size_z
      - .offset:         50
        .size:           2
        .value_kind:     hidden_remainder_x
      - .offset:         52
        .size:           2
        .value_kind:     hidden_remainder_y
      - .offset:         54
        .size:           2
        .value_kind:     hidden_remainder_z
      - .offset:         72
        .size:           8
        .value_kind:     hidden_global_offset_x
      - .offset:         80
        .size:           8
        .value_kind:     hidden_global_offset_y
      - .offset:         88
        .size:           8
        .value_kind:     hidden_global_offset_z
      - .offset:         96
        .size:           2
        .value_kind:     hidden_grid_dims
    .group_segment_fixed_size: 0
    .kernarg_segment_align: 8
    .kernarg_segment_size: 288
    .language:       OpenCL C
    .language_version:
      - 2
      - 0
    .max_flat_workgroup_size: 1024
    .name:           _Z11fill_kernelI17hipblaslt_f8_fnuzZ21hipblaslt_init_deviceIS0_Ev8ABC_dims24hipblaslt_initializationbPT_mmmmmEUlmE6_EvS5_mmT0_
    .private_segment_fixed_size: 0
    .sgpr_count:     16
    .sgpr_spill_count: 0
    .symbol:         _Z11fill_kernelI17hipblaslt_f8_fnuzZ21hipblaslt_init_deviceIS0_Ev8ABC_dims24hipblaslt_initializationbPT_mmmmmEUlmE6_EvS5_mmT0_.kd
    .uniform_work_group_size: 1
    .uses_dynamic_stack: false
    .vgpr_count:     3
    .vgpr_spill_count: 0
    .wavefront_size: 32
    .workgroup_processor_mode: 1
  - .args:
      - .address_space:  global
        .offset:         0
        .size:           8
        .value_kind:     global_buffer
      - .offset:         8
        .size:           8
        .value_kind:     by_value
      - .offset:         16
        .size:           8
        .value_kind:     by_value
      - .offset:         24
        .size:           1
        .value_kind:     by_value
      - .offset:         32
        .size:           4
        .value_kind:     hidden_block_count_x
      - .offset:         36
        .size:           4
        .value_kind:     hidden_block_count_y
      - .offset:         40
        .size:           4
        .value_kind:     hidden_block_count_z
      - .offset:         44
        .size:           2
        .value_kind:     hidden_group_size_x
      - .offset:         46
        .size:           2
        .value_kind:     hidden_group_size_y
      - .offset:         48
        .size:           2
        .value_kind:     hidden_group_size_z
      - .offset:         50
        .size:           2
        .value_kind:     hidden_remainder_x
      - .offset:         52
        .size:           2
        .value_kind:     hidden_remainder_y
      - .offset:         54
        .size:           2
        .value_kind:     hidden_remainder_z
      - .offset:         72
        .size:           8
        .value_kind:     hidden_global_offset_x
      - .offset:         80
        .size:           8
        .value_kind:     hidden_global_offset_y
      - .offset:         88
        .size:           8
        .value_kind:     hidden_global_offset_z
      - .offset:         96
        .size:           2
        .value_kind:     hidden_grid_dims
    .group_segment_fixed_size: 0
    .kernarg_segment_align: 8
    .kernarg_segment_size: 288
    .language:       OpenCL C
    .language_version:
      - 2
      - 0
    .max_flat_workgroup_size: 1024
    .name:           _Z11fill_kernelI17hipblaslt_f8_fnuzZ21hipblaslt_init_deviceIS0_Ev8ABC_dims24hipblaslt_initializationbPT_mmmmmEUlmE7_EvS5_mmT0_
    .private_segment_fixed_size: 0
    .sgpr_count:     18
    .sgpr_spill_count: 0
    .symbol:         _Z11fill_kernelI17hipblaslt_f8_fnuzZ21hipblaslt_init_deviceIS0_Ev8ABC_dims24hipblaslt_initializationbPT_mmmmmEUlmE7_EvS5_mmT0_.kd
    .uniform_work_group_size: 1
    .uses_dynamic_stack: false
    .vgpr_count:     12
    .vgpr_spill_count: 0
    .wavefront_size: 32
    .workgroup_processor_mode: 1
  - .args:
      - .address_space:  global
        .offset:         0
        .size:           8
        .value_kind:     global_buffer
      - .offset:         8
        .size:           8
        .value_kind:     by_value
      - .offset:         16
        .size:           8
        .value_kind:     by_value
      - .offset:         24
        .size:           1
        .value_kind:     by_value
      - .offset:         32
        .size:           4
        .value_kind:     hidden_block_count_x
      - .offset:         36
        .size:           4
        .value_kind:     hidden_block_count_y
      - .offset:         40
        .size:           4
        .value_kind:     hidden_block_count_z
      - .offset:         44
        .size:           2
        .value_kind:     hidden_group_size_x
      - .offset:         46
        .size:           2
        .value_kind:     hidden_group_size_y
      - .offset:         48
        .size:           2
        .value_kind:     hidden_group_size_z
      - .offset:         50
        .size:           2
        .value_kind:     hidden_remainder_x
      - .offset:         52
        .size:           2
        .value_kind:     hidden_remainder_y
      - .offset:         54
        .size:           2
        .value_kind:     hidden_remainder_z
      - .offset:         72
        .size:           8
        .value_kind:     hidden_global_offset_x
      - .offset:         80
        .size:           8
        .value_kind:     hidden_global_offset_y
      - .offset:         88
        .size:           8
        .value_kind:     hidden_global_offset_z
      - .offset:         96
        .size:           2
        .value_kind:     hidden_grid_dims
    .group_segment_fixed_size: 0
    .kernarg_segment_align: 8
    .kernarg_segment_size: 288
    .language:       OpenCL C
    .language_version:
      - 2
      - 0
    .max_flat_workgroup_size: 1024
    .name:           _Z11fill_kernelI17hipblaslt_f8_fnuzZ21hipblaslt_init_deviceIS0_Ev8ABC_dims24hipblaslt_initializationbPT_mmmmmEUlmE8_EvS5_mmT0_
    .private_segment_fixed_size: 0
    .sgpr_count:     16
    .sgpr_spill_count: 0
    .symbol:         _Z11fill_kernelI17hipblaslt_f8_fnuzZ21hipblaslt_init_deviceIS0_Ev8ABC_dims24hipblaslt_initializationbPT_mmmmmEUlmE8_EvS5_mmT0_.kd
    .uniform_work_group_size: 1
    .uses_dynamic_stack: false
    .vgpr_count:     3
    .vgpr_spill_count: 0
    .wavefront_size: 32
    .workgroup_processor_mode: 1
  - .args:
      - .address_space:  global
        .offset:         0
        .size:           8
        .value_kind:     global_buffer
      - .offset:         8
        .size:           8
        .value_kind:     by_value
      - .offset:         16
        .size:           8
        .value_kind:     by_value
      - .offset:         24
        .size:           4
        .value_kind:     by_value
      - .offset:         32
        .size:           4
        .value_kind:     hidden_block_count_x
      - .offset:         36
        .size:           4
        .value_kind:     hidden_block_count_y
      - .offset:         40
        .size:           4
        .value_kind:     hidden_block_count_z
      - .offset:         44
        .size:           2
        .value_kind:     hidden_group_size_x
      - .offset:         46
        .size:           2
        .value_kind:     hidden_group_size_y
      - .offset:         48
        .size:           2
        .value_kind:     hidden_group_size_z
      - .offset:         50
        .size:           2
        .value_kind:     hidden_remainder_x
      - .offset:         52
        .size:           2
        .value_kind:     hidden_remainder_y
      - .offset:         54
        .size:           2
        .value_kind:     hidden_remainder_z
      - .offset:         72
        .size:           8
        .value_kind:     hidden_global_offset_x
      - .offset:         80
        .size:           8
        .value_kind:     hidden_global_offset_y
      - .offset:         88
        .size:           8
        .value_kind:     hidden_global_offset_z
      - .offset:         96
        .size:           2
        .value_kind:     hidden_grid_dims
    .group_segment_fixed_size: 0
    .kernarg_segment_align: 8
    .kernarg_segment_size: 288
    .language:       OpenCL C
    .language_version:
      - 2
      - 0
    .max_flat_workgroup_size: 1024
    .name:           _Z11fill_kernelI17hipblaslt_f8_fnuzZ21hipblaslt_init_deviceIS0_Ev8ABC_dims24hipblaslt_initializationbPT_mmmmmEUlmE9_EvS5_mmT0_
    .private_segment_fixed_size: 0
    .sgpr_count:     18
    .sgpr_spill_count: 0
    .symbol:         _Z11fill_kernelI17hipblaslt_f8_fnuzZ21hipblaslt_init_deviceIS0_Ev8ABC_dims24hipblaslt_initializationbPT_mmmmmEUlmE9_EvS5_mmT0_.kd
    .uniform_work_group_size: 1
    .uses_dynamic_stack: false
    .vgpr_count:     17
    .vgpr_spill_count: 0
    .wavefront_size: 32
    .workgroup_processor_mode: 1
  - .args:
      - .address_space:  global
        .offset:         0
        .size:           8
        .value_kind:     global_buffer
      - .offset:         8
        .size:           8
        .value_kind:     by_value
      - .offset:         16
        .size:           8
        .value_kind:     by_value
      - .offset:         24
        .size:           100
        .value_kind:     by_value
      - .offset:         128
        .size:           4
        .value_kind:     hidden_block_count_x
      - .offset:         132
        .size:           4
        .value_kind:     hidden_block_count_y
      - .offset:         136
        .size:           4
        .value_kind:     hidden_block_count_z
      - .offset:         140
        .size:           2
        .value_kind:     hidden_group_size_x
      - .offset:         142
        .size:           2
        .value_kind:     hidden_group_size_y
      - .offset:         144
        .size:           2
        .value_kind:     hidden_group_size_z
      - .offset:         146
        .size:           2
        .value_kind:     hidden_remainder_x
      - .offset:         148
        .size:           2
        .value_kind:     hidden_remainder_y
      - .offset:         150
        .size:           2
        .value_kind:     hidden_remainder_z
      - .offset:         168
        .size:           8
        .value_kind:     hidden_global_offset_x
      - .offset:         176
        .size:           8
        .value_kind:     hidden_global_offset_y
      - .offset:         184
        .size:           8
        .value_kind:     hidden_global_offset_z
      - .offset:         192
        .size:           2
        .value_kind:     hidden_grid_dims
    .group_segment_fixed_size: 0
    .kernarg_segment_align: 8
    .kernarg_segment_size: 384
    .language:       OpenCL C
    .language_version:
      - 2
      - 0
    .max_flat_workgroup_size: 1024
    .name:           _Z11fill_kernelI18hipblaslt_bf8_fnuzZ21hipblaslt_init_deviceIS0_Ev8ABC_dims24hipblaslt_initializationbPT_mmmmmEUlmE_EvS5_mmT0_
    .private_segment_fixed_size: 0
    .sgpr_count:     18
    .sgpr_spill_count: 0
    .symbol:         _Z11fill_kernelI18hipblaslt_bf8_fnuzZ21hipblaslt_init_deviceIS0_Ev8ABC_dims24hipblaslt_initializationbPT_mmmmmEUlmE_EvS5_mmT0_.kd
    .uniform_work_group_size: 1
    .uses_dynamic_stack: false
    .vgpr_count:     6
    .vgpr_spill_count: 0
    .wavefront_size: 32
    .workgroup_processor_mode: 1
  - .args:
      - .address_space:  global
        .offset:         0
        .size:           8
        .value_kind:     global_buffer
      - .offset:         8
        .size:           8
        .value_kind:     by_value
      - .offset:         16
        .size:           8
        .value_kind:     by_value
      - .offset:         24
        .size:           1
        .value_kind:     by_value
      - .offset:         32
        .size:           4
        .value_kind:     hidden_block_count_x
      - .offset:         36
        .size:           4
        .value_kind:     hidden_block_count_y
      - .offset:         40
        .size:           4
        .value_kind:     hidden_block_count_z
      - .offset:         44
        .size:           2
        .value_kind:     hidden_group_size_x
      - .offset:         46
        .size:           2
        .value_kind:     hidden_group_size_y
      - .offset:         48
        .size:           2
        .value_kind:     hidden_group_size_z
      - .offset:         50
        .size:           2
        .value_kind:     hidden_remainder_x
      - .offset:         52
        .size:           2
        .value_kind:     hidden_remainder_y
      - .offset:         54
        .size:           2
        .value_kind:     hidden_remainder_z
      - .offset:         72
        .size:           8
        .value_kind:     hidden_global_offset_x
      - .offset:         80
        .size:           8
        .value_kind:     hidden_global_offset_y
      - .offset:         88
        .size:           8
        .value_kind:     hidden_global_offset_z
      - .offset:         96
        .size:           2
        .value_kind:     hidden_grid_dims
    .group_segment_fixed_size: 0
    .kernarg_segment_align: 8
    .kernarg_segment_size: 288
    .language:       OpenCL C
    .language_version:
      - 2
      - 0
    .max_flat_workgroup_size: 1024
    .name:           _Z11fill_kernelI18hipblaslt_bf8_fnuzZ21hipblaslt_init_deviceIS0_Ev8ABC_dims24hipblaslt_initializationbPT_mmmmmEUlmE0_EvS5_mmT0_
    .private_segment_fixed_size: 0
    .sgpr_count:     18
    .sgpr_spill_count: 0
    .symbol:         _Z11fill_kernelI18hipblaslt_bf8_fnuzZ21hipblaslt_init_deviceIS0_Ev8ABC_dims24hipblaslt_initializationbPT_mmmmmEUlmE0_EvS5_mmT0_.kd
    .uniform_work_group_size: 1
    .uses_dynamic_stack: false
    .vgpr_count:     12
    .vgpr_spill_count: 0
    .wavefront_size: 32
    .workgroup_processor_mode: 1
  - .args:
      - .address_space:  global
        .offset:         0
        .size:           8
        .value_kind:     global_buffer
      - .offset:         8
        .size:           8
        .value_kind:     by_value
      - .offset:         16
        .size:           8
        .value_kind:     by_value
      - .offset:         24
        .size:           16
        .value_kind:     by_value
      - .offset:         40
        .size:           4
        .value_kind:     hidden_block_count_x
      - .offset:         44
        .size:           4
        .value_kind:     hidden_block_count_y
      - .offset:         48
        .size:           4
        .value_kind:     hidden_block_count_z
      - .offset:         52
        .size:           2
        .value_kind:     hidden_group_size_x
      - .offset:         54
        .size:           2
        .value_kind:     hidden_group_size_y
      - .offset:         56
        .size:           2
        .value_kind:     hidden_group_size_z
      - .offset:         58
        .size:           2
        .value_kind:     hidden_remainder_x
      - .offset:         60
        .size:           2
        .value_kind:     hidden_remainder_y
      - .offset:         62
        .size:           2
        .value_kind:     hidden_remainder_z
      - .offset:         80
        .size:           8
        .value_kind:     hidden_global_offset_x
      - .offset:         88
        .size:           8
        .value_kind:     hidden_global_offset_y
      - .offset:         96
        .size:           8
        .value_kind:     hidden_global_offset_z
      - .offset:         104
        .size:           2
        .value_kind:     hidden_grid_dims
    .group_segment_fixed_size: 0
    .kernarg_segment_align: 8
    .kernarg_segment_size: 296
    .language:       OpenCL C
    .language_version:
      - 2
      - 0
    .max_flat_workgroup_size: 1024
    .name:           _Z11fill_kernelI18hipblaslt_bf8_fnuzZ21hipblaslt_init_deviceIS0_Ev8ABC_dims24hipblaslt_initializationbPT_mmmmmEUlmE1_EvS5_mmT0_
    .private_segment_fixed_size: 0
    .sgpr_count:     18
    .sgpr_spill_count: 0
    .symbol:         _Z11fill_kernelI18hipblaslt_bf8_fnuzZ21hipblaslt_init_deviceIS0_Ev8ABC_dims24hipblaslt_initializationbPT_mmmmmEUlmE1_EvS5_mmT0_.kd
    .uniform_work_group_size: 1
    .uses_dynamic_stack: false
    .vgpr_count:     14
    .vgpr_spill_count: 0
    .wavefront_size: 32
    .workgroup_processor_mode: 1
  - .args:
      - .address_space:  global
        .offset:         0
        .size:           8
        .value_kind:     global_buffer
      - .offset:         8
        .size:           8
        .value_kind:     by_value
      - .offset:         16
        .size:           8
        .value_kind:     by_value
      - .offset:         24
        .size:           32
        .value_kind:     by_value
      - .offset:         56
        .size:           4
        .value_kind:     hidden_block_count_x
      - .offset:         60
        .size:           4
        .value_kind:     hidden_block_count_y
      - .offset:         64
        .size:           4
        .value_kind:     hidden_block_count_z
      - .offset:         68
        .size:           2
        .value_kind:     hidden_group_size_x
      - .offset:         70
        .size:           2
        .value_kind:     hidden_group_size_y
      - .offset:         72
        .size:           2
        .value_kind:     hidden_group_size_z
      - .offset:         74
        .size:           2
        .value_kind:     hidden_remainder_x
      - .offset:         76
        .size:           2
        .value_kind:     hidden_remainder_y
      - .offset:         78
        .size:           2
        .value_kind:     hidden_remainder_z
      - .offset:         96
        .size:           8
        .value_kind:     hidden_global_offset_x
      - .offset:         104
        .size:           8
        .value_kind:     hidden_global_offset_y
      - .offset:         112
        .size:           8
        .value_kind:     hidden_global_offset_z
      - .offset:         120
        .size:           2
        .value_kind:     hidden_grid_dims
    .group_segment_fixed_size: 0
    .kernarg_segment_align: 8
    .kernarg_segment_size: 312
    .language:       OpenCL C
    .language_version:
      - 2
      - 0
    .max_flat_workgroup_size: 1024
    .name:           _Z11fill_kernelI18hipblaslt_bf8_fnuzZ21hipblaslt_init_deviceIS0_Ev8ABC_dims24hipblaslt_initializationbPT_mmmmmEUlmE2_EvS5_mmT0_
    .private_segment_fixed_size: 0
    .sgpr_count:     22
    .sgpr_spill_count: 0
    .symbol:         _Z11fill_kernelI18hipblaslt_bf8_fnuzZ21hipblaslt_init_deviceIS0_Ev8ABC_dims24hipblaslt_initializationbPT_mmmmmEUlmE2_EvS5_mmT0_.kd
    .uniform_work_group_size: 1
    .uses_dynamic_stack: false
    .vgpr_count:     33
    .vgpr_spill_count: 0
    .wavefront_size: 32
    .workgroup_processor_mode: 1
  - .args:
      - .address_space:  global
        .offset:         0
        .size:           8
        .value_kind:     global_buffer
      - .offset:         8
        .size:           8
        .value_kind:     by_value
      - .offset:         16
        .size:           8
        .value_kind:     by_value
      - .offset:         24
        .size:           32
        .value_kind:     by_value
      - .offset:         56
        .size:           4
        .value_kind:     hidden_block_count_x
      - .offset:         60
        .size:           4
        .value_kind:     hidden_block_count_y
      - .offset:         64
        .size:           4
        .value_kind:     hidden_block_count_z
      - .offset:         68
        .size:           2
        .value_kind:     hidden_group_size_x
      - .offset:         70
        .size:           2
        .value_kind:     hidden_group_size_y
      - .offset:         72
        .size:           2
        .value_kind:     hidden_group_size_z
      - .offset:         74
        .size:           2
        .value_kind:     hidden_remainder_x
      - .offset:         76
        .size:           2
        .value_kind:     hidden_remainder_y
      - .offset:         78
        .size:           2
        .value_kind:     hidden_remainder_z
      - .offset:         96
        .size:           8
        .value_kind:     hidden_global_offset_x
      - .offset:         104
        .size:           8
        .value_kind:     hidden_global_offset_y
      - .offset:         112
        .size:           8
        .value_kind:     hidden_global_offset_z
      - .offset:         120
        .size:           2
        .value_kind:     hidden_grid_dims
    .group_segment_fixed_size: 0
    .kernarg_segment_align: 8
    .kernarg_segment_size: 312
    .language:       OpenCL C
    .language_version:
      - 2
      - 0
    .max_flat_workgroup_size: 1024
    .name:           _Z11fill_kernelI18hipblaslt_bf8_fnuzZ21hipblaslt_init_deviceIS0_Ev8ABC_dims24hipblaslt_initializationbPT_mmmmmEUlmE3_EvS5_mmT0_
    .private_segment_fixed_size: 0
    .sgpr_count:     22
    .sgpr_spill_count: 0
    .symbol:         _Z11fill_kernelI18hipblaslt_bf8_fnuzZ21hipblaslt_init_deviceIS0_Ev8ABC_dims24hipblaslt_initializationbPT_mmmmmEUlmE3_EvS5_mmT0_.kd
    .uniform_work_group_size: 1
    .uses_dynamic_stack: false
    .vgpr_count:     33
    .vgpr_spill_count: 0
    .wavefront_size: 32
    .workgroup_processor_mode: 1
  - .args:
      - .address_space:  global
        .offset:         0
        .size:           8
        .value_kind:     global_buffer
      - .offset:         8
        .size:           8
        .value_kind:     by_value
      - .offset:         16
        .size:           8
        .value_kind:     by_value
      - .offset:         24
        .size:           1
        .value_kind:     by_value
      - .offset:         32
        .size:           4
        .value_kind:     hidden_block_count_x
      - .offset:         36
        .size:           4
        .value_kind:     hidden_block_count_y
      - .offset:         40
        .size:           4
        .value_kind:     hidden_block_count_z
      - .offset:         44
        .size:           2
        .value_kind:     hidden_group_size_x
      - .offset:         46
        .size:           2
        .value_kind:     hidden_group_size_y
      - .offset:         48
        .size:           2
        .value_kind:     hidden_group_size_z
      - .offset:         50
        .size:           2
        .value_kind:     hidden_remainder_x
      - .offset:         52
        .size:           2
        .value_kind:     hidden_remainder_y
      - .offset:         54
        .size:           2
        .value_kind:     hidden_remainder_z
      - .offset:         72
        .size:           8
        .value_kind:     hidden_global_offset_x
      - .offset:         80
        .size:           8
        .value_kind:     hidden_global_offset_y
      - .offset:         88
        .size:           8
        .value_kind:     hidden_global_offset_z
      - .offset:         96
        .size:           2
        .value_kind:     hidden_grid_dims
    .group_segment_fixed_size: 0
    .kernarg_segment_align: 8
    .kernarg_segment_size: 288
    .language:       OpenCL C
    .language_version:
      - 2
      - 0
    .max_flat_workgroup_size: 1024
    .name:           _Z11fill_kernelI18hipblaslt_bf8_fnuzZ21hipblaslt_init_deviceIS0_Ev8ABC_dims24hipblaslt_initializationbPT_mmmmmEUlmE4_EvS5_mmT0_
    .private_segment_fixed_size: 0
    .sgpr_count:     18
    .sgpr_spill_count: 0
    .symbol:         _Z11fill_kernelI18hipblaslt_bf8_fnuzZ21hipblaslt_init_deviceIS0_Ev8ABC_dims24hipblaslt_initializationbPT_mmmmmEUlmE4_EvS5_mmT0_.kd
    .uniform_work_group_size: 1
    .uses_dynamic_stack: false
    .vgpr_count:     16
    .vgpr_spill_count: 0
    .wavefront_size: 32
    .workgroup_processor_mode: 1
  - .args:
      - .address_space:  global
        .offset:         0
        .size:           8
        .value_kind:     global_buffer
      - .offset:         8
        .size:           8
        .value_kind:     by_value
      - .offset:         16
        .size:           8
        .value_kind:     by_value
      - .offset:         24
        .size:           1
        .value_kind:     by_value
      - .offset:         32
        .size:           4
        .value_kind:     hidden_block_count_x
      - .offset:         36
        .size:           4
        .value_kind:     hidden_block_count_y
      - .offset:         40
        .size:           4
        .value_kind:     hidden_block_count_z
      - .offset:         44
        .size:           2
        .value_kind:     hidden_group_size_x
      - .offset:         46
        .size:           2
        .value_kind:     hidden_group_size_y
      - .offset:         48
        .size:           2
        .value_kind:     hidden_group_size_z
      - .offset:         50
        .size:           2
        .value_kind:     hidden_remainder_x
      - .offset:         52
        .size:           2
        .value_kind:     hidden_remainder_y
      - .offset:         54
        .size:           2
        .value_kind:     hidden_remainder_z
      - .offset:         72
        .size:           8
        .value_kind:     hidden_global_offset_x
      - .offset:         80
        .size:           8
        .value_kind:     hidden_global_offset_y
      - .offset:         88
        .size:           8
        .value_kind:     hidden_global_offset_z
      - .offset:         96
        .size:           2
        .value_kind:     hidden_grid_dims
    .group_segment_fixed_size: 0
    .kernarg_segment_align: 8
    .kernarg_segment_size: 288
    .language:       OpenCL C
    .language_version:
      - 2
      - 0
    .max_flat_workgroup_size: 1024
    .name:           _Z11fill_kernelI18hipblaslt_bf8_fnuzZ21hipblaslt_init_deviceIS0_Ev8ABC_dims24hipblaslt_initializationbPT_mmmmmEUlmE5_EvS5_mmT0_
    .private_segment_fixed_size: 0
    .sgpr_count:     16
    .sgpr_spill_count: 0
    .symbol:         _Z11fill_kernelI18hipblaslt_bf8_fnuzZ21hipblaslt_init_deviceIS0_Ev8ABC_dims24hipblaslt_initializationbPT_mmmmmEUlmE5_EvS5_mmT0_.kd
    .uniform_work_group_size: 1
    .uses_dynamic_stack: false
    .vgpr_count:     3
    .vgpr_spill_count: 0
    .wavefront_size: 32
    .workgroup_processor_mode: 1
  - .args:
      - .address_space:  global
        .offset:         0
        .size:           8
        .value_kind:     global_buffer
      - .offset:         8
        .size:           8
        .value_kind:     by_value
      - .offset:         16
        .size:           8
        .value_kind:     by_value
      - .offset:         24
        .size:           1
        .value_kind:     by_value
      - .offset:         32
        .size:           4
        .value_kind:     hidden_block_count_x
      - .offset:         36
        .size:           4
        .value_kind:     hidden_block_count_y
      - .offset:         40
        .size:           4
        .value_kind:     hidden_block_count_z
      - .offset:         44
        .size:           2
        .value_kind:     hidden_group_size_x
      - .offset:         46
        .size:           2
        .value_kind:     hidden_group_size_y
      - .offset:         48
        .size:           2
        .value_kind:     hidden_group_size_z
      - .offset:         50
        .size:           2
        .value_kind:     hidden_remainder_x
      - .offset:         52
        .size:           2
        .value_kind:     hidden_remainder_y
      - .offset:         54
        .size:           2
        .value_kind:     hidden_remainder_z
      - .offset:         72
        .size:           8
        .value_kind:     hidden_global_offset_x
      - .offset:         80
        .size:           8
        .value_kind:     hidden_global_offset_y
      - .offset:         88
        .size:           8
        .value_kind:     hidden_global_offset_z
      - .offset:         96
        .size:           2
        .value_kind:     hidden_grid_dims
    .group_segment_fixed_size: 0
    .kernarg_segment_align: 8
    .kernarg_segment_size: 288
    .language:       OpenCL C
    .language_version:
      - 2
      - 0
    .max_flat_workgroup_size: 1024
    .name:           _Z11fill_kernelI18hipblaslt_bf8_fnuzZ21hipblaslt_init_deviceIS0_Ev8ABC_dims24hipblaslt_initializationbPT_mmmmmEUlmE6_EvS5_mmT0_
    .private_segment_fixed_size: 0
    .sgpr_count:     16
    .sgpr_spill_count: 0
    .symbol:         _Z11fill_kernelI18hipblaslt_bf8_fnuzZ21hipblaslt_init_deviceIS0_Ev8ABC_dims24hipblaslt_initializationbPT_mmmmmEUlmE6_EvS5_mmT0_.kd
    .uniform_work_group_size: 1
    .uses_dynamic_stack: false
    .vgpr_count:     3
    .vgpr_spill_count: 0
    .wavefront_size: 32
    .workgroup_processor_mode: 1
  - .args:
      - .address_space:  global
        .offset:         0
        .size:           8
        .value_kind:     global_buffer
      - .offset:         8
        .size:           8
        .value_kind:     by_value
      - .offset:         16
        .size:           8
        .value_kind:     by_value
      - .offset:         24
        .size:           1
        .value_kind:     by_value
      - .offset:         32
        .size:           4
        .value_kind:     hidden_block_count_x
      - .offset:         36
        .size:           4
        .value_kind:     hidden_block_count_y
      - .offset:         40
        .size:           4
        .value_kind:     hidden_block_count_z
      - .offset:         44
        .size:           2
        .value_kind:     hidden_group_size_x
      - .offset:         46
        .size:           2
        .value_kind:     hidden_group_size_y
      - .offset:         48
        .size:           2
        .value_kind:     hidden_group_size_z
      - .offset:         50
        .size:           2
        .value_kind:     hidden_remainder_x
      - .offset:         52
        .size:           2
        .value_kind:     hidden_remainder_y
      - .offset:         54
        .size:           2
        .value_kind:     hidden_remainder_z
      - .offset:         72
        .size:           8
        .value_kind:     hidden_global_offset_x
      - .offset:         80
        .size:           8
        .value_kind:     hidden_global_offset_y
      - .offset:         88
        .size:           8
        .value_kind:     hidden_global_offset_z
      - .offset:         96
        .size:           2
        .value_kind:     hidden_grid_dims
    .group_segment_fixed_size: 0
    .kernarg_segment_align: 8
    .kernarg_segment_size: 288
    .language:       OpenCL C
    .language_version:
      - 2
      - 0
    .max_flat_workgroup_size: 1024
    .name:           _Z11fill_kernelI18hipblaslt_bf8_fnuzZ21hipblaslt_init_deviceIS0_Ev8ABC_dims24hipblaslt_initializationbPT_mmmmmEUlmE7_EvS5_mmT0_
    .private_segment_fixed_size: 0
    .sgpr_count:     18
    .sgpr_spill_count: 0
    .symbol:         _Z11fill_kernelI18hipblaslt_bf8_fnuzZ21hipblaslt_init_deviceIS0_Ev8ABC_dims24hipblaslt_initializationbPT_mmmmmEUlmE7_EvS5_mmT0_.kd
    .uniform_work_group_size: 1
    .uses_dynamic_stack: false
    .vgpr_count:     12
    .vgpr_spill_count: 0
    .wavefront_size: 32
    .workgroup_processor_mode: 1
  - .args:
      - .address_space:  global
        .offset:         0
        .size:           8
        .value_kind:     global_buffer
      - .offset:         8
        .size:           8
        .value_kind:     by_value
      - .offset:         16
        .size:           8
        .value_kind:     by_value
      - .offset:         24
        .size:           1
        .value_kind:     by_value
      - .offset:         32
        .size:           4
        .value_kind:     hidden_block_count_x
      - .offset:         36
        .size:           4
        .value_kind:     hidden_block_count_y
      - .offset:         40
        .size:           4
        .value_kind:     hidden_block_count_z
      - .offset:         44
        .size:           2
        .value_kind:     hidden_group_size_x
      - .offset:         46
        .size:           2
        .value_kind:     hidden_group_size_y
      - .offset:         48
        .size:           2
        .value_kind:     hidden_group_size_z
      - .offset:         50
        .size:           2
        .value_kind:     hidden_remainder_x
      - .offset:         52
        .size:           2
        .value_kind:     hidden_remainder_y
      - .offset:         54
        .size:           2
        .value_kind:     hidden_remainder_z
      - .offset:         72
        .size:           8
        .value_kind:     hidden_global_offset_x
      - .offset:         80
        .size:           8
        .value_kind:     hidden_global_offset_y
      - .offset:         88
        .size:           8
        .value_kind:     hidden_global_offset_z
      - .offset:         96
        .size:           2
        .value_kind:     hidden_grid_dims
    .group_segment_fixed_size: 0
    .kernarg_segment_align: 8
    .kernarg_segment_size: 288
    .language:       OpenCL C
    .language_version:
      - 2
      - 0
    .max_flat_workgroup_size: 1024
    .name:           _Z11fill_kernelI18hipblaslt_bf8_fnuzZ21hipblaslt_init_deviceIS0_Ev8ABC_dims24hipblaslt_initializationbPT_mmmmmEUlmE8_EvS5_mmT0_
    .private_segment_fixed_size: 0
    .sgpr_count:     16
    .sgpr_spill_count: 0
    .symbol:         _Z11fill_kernelI18hipblaslt_bf8_fnuzZ21hipblaslt_init_deviceIS0_Ev8ABC_dims24hipblaslt_initializationbPT_mmmmmEUlmE8_EvS5_mmT0_.kd
    .uniform_work_group_size: 1
    .uses_dynamic_stack: false
    .vgpr_count:     3
    .vgpr_spill_count: 0
    .wavefront_size: 32
    .workgroup_processor_mode: 1
  - .args:
      - .address_space:  global
        .offset:         0
        .size:           8
        .value_kind:     global_buffer
      - .offset:         8
        .size:           8
        .value_kind:     by_value
      - .offset:         16
        .size:           8
        .value_kind:     by_value
      - .offset:         24
        .size:           4
        .value_kind:     by_value
      - .offset:         32
        .size:           4
        .value_kind:     hidden_block_count_x
      - .offset:         36
        .size:           4
        .value_kind:     hidden_block_count_y
      - .offset:         40
        .size:           4
        .value_kind:     hidden_block_count_z
      - .offset:         44
        .size:           2
        .value_kind:     hidden_group_size_x
      - .offset:         46
        .size:           2
        .value_kind:     hidden_group_size_y
      - .offset:         48
        .size:           2
        .value_kind:     hidden_group_size_z
      - .offset:         50
        .size:           2
        .value_kind:     hidden_remainder_x
      - .offset:         52
        .size:           2
        .value_kind:     hidden_remainder_y
      - .offset:         54
        .size:           2
        .value_kind:     hidden_remainder_z
      - .offset:         72
        .size:           8
        .value_kind:     hidden_global_offset_x
      - .offset:         80
        .size:           8
        .value_kind:     hidden_global_offset_y
      - .offset:         88
        .size:           8
        .value_kind:     hidden_global_offset_z
      - .offset:         96
        .size:           2
        .value_kind:     hidden_grid_dims
    .group_segment_fixed_size: 0
    .kernarg_segment_align: 8
    .kernarg_segment_size: 288
    .language:       OpenCL C
    .language_version:
      - 2
      - 0
    .max_flat_workgroup_size: 1024
    .name:           _Z11fill_kernelI18hipblaslt_bf8_fnuzZ21hipblaslt_init_deviceIS0_Ev8ABC_dims24hipblaslt_initializationbPT_mmmmmEUlmE9_EvS5_mmT0_
    .private_segment_fixed_size: 0
    .sgpr_count:     18
    .sgpr_spill_count: 0
    .symbol:         _Z11fill_kernelI18hipblaslt_bf8_fnuzZ21hipblaslt_init_deviceIS0_Ev8ABC_dims24hipblaslt_initializationbPT_mmmmmEUlmE9_EvS5_mmT0_.kd
    .uniform_work_group_size: 1
    .uses_dynamic_stack: false
    .vgpr_count:     17
    .vgpr_spill_count: 0
    .wavefront_size: 32
    .workgroup_processor_mode: 1
  - .args:
      - .address_space:  global
        .offset:         0
        .size:           8
        .value_kind:     global_buffer
      - .offset:         8
        .size:           8
        .value_kind:     by_value
      - .offset:         16
        .size:           8
        .value_kind:     by_value
      - .offset:         24
        .size:           100
        .value_kind:     by_value
      - .offset:         128
        .size:           4
        .value_kind:     hidden_block_count_x
      - .offset:         132
        .size:           4
        .value_kind:     hidden_block_count_y
      - .offset:         136
        .size:           4
        .value_kind:     hidden_block_count_z
      - .offset:         140
        .size:           2
        .value_kind:     hidden_group_size_x
      - .offset:         142
        .size:           2
        .value_kind:     hidden_group_size_y
      - .offset:         144
        .size:           2
        .value_kind:     hidden_group_size_z
      - .offset:         146
        .size:           2
        .value_kind:     hidden_remainder_x
      - .offset:         148
        .size:           2
        .value_kind:     hidden_remainder_y
      - .offset:         150
        .size:           2
        .value_kind:     hidden_remainder_z
      - .offset:         168
        .size:           8
        .value_kind:     hidden_global_offset_x
      - .offset:         176
        .size:           8
        .value_kind:     hidden_global_offset_y
      - .offset:         184
        .size:           8
        .value_kind:     hidden_global_offset_z
      - .offset:         192
        .size:           2
        .value_kind:     hidden_grid_dims
    .group_segment_fixed_size: 0
    .kernarg_segment_align: 8
    .kernarg_segment_size: 384
    .language:       OpenCL C
    .language_version:
      - 2
      - 0
    .max_flat_workgroup_size: 1024
    .name:           _Z11fill_kernelI12hipblaslt_f8Z21hipblaslt_init_deviceIS0_Ev8ABC_dims24hipblaslt_initializationbPT_mmmmmEUlmE_EvS5_mmT0_
    .private_segment_fixed_size: 0
    .sgpr_count:     18
    .sgpr_spill_count: 0
    .symbol:         _Z11fill_kernelI12hipblaslt_f8Z21hipblaslt_init_deviceIS0_Ev8ABC_dims24hipblaslt_initializationbPT_mmmmmEUlmE_EvS5_mmT0_.kd
    .uniform_work_group_size: 1
    .uses_dynamic_stack: false
    .vgpr_count:     6
    .vgpr_spill_count: 0
    .wavefront_size: 32
    .workgroup_processor_mode: 1
  - .args:
      - .address_space:  global
        .offset:         0
        .size:           8
        .value_kind:     global_buffer
      - .offset:         8
        .size:           8
        .value_kind:     by_value
      - .offset:         16
        .size:           8
        .value_kind:     by_value
      - .offset:         24
        .size:           1
        .value_kind:     by_value
      - .offset:         32
        .size:           4
        .value_kind:     hidden_block_count_x
      - .offset:         36
        .size:           4
        .value_kind:     hidden_block_count_y
      - .offset:         40
        .size:           4
        .value_kind:     hidden_block_count_z
      - .offset:         44
        .size:           2
        .value_kind:     hidden_group_size_x
      - .offset:         46
        .size:           2
        .value_kind:     hidden_group_size_y
      - .offset:         48
        .size:           2
        .value_kind:     hidden_group_size_z
      - .offset:         50
        .size:           2
        .value_kind:     hidden_remainder_x
      - .offset:         52
        .size:           2
        .value_kind:     hidden_remainder_y
      - .offset:         54
        .size:           2
        .value_kind:     hidden_remainder_z
      - .offset:         72
        .size:           8
        .value_kind:     hidden_global_offset_x
      - .offset:         80
        .size:           8
        .value_kind:     hidden_global_offset_y
      - .offset:         88
        .size:           8
        .value_kind:     hidden_global_offset_z
      - .offset:         96
        .size:           2
        .value_kind:     hidden_grid_dims
    .group_segment_fixed_size: 0
    .kernarg_segment_align: 8
    .kernarg_segment_size: 288
    .language:       OpenCL C
    .language_version:
      - 2
      - 0
    .max_flat_workgroup_size: 1024
    .name:           _Z11fill_kernelI12hipblaslt_f8Z21hipblaslt_init_deviceIS0_Ev8ABC_dims24hipblaslt_initializationbPT_mmmmmEUlmE0_EvS5_mmT0_
    .private_segment_fixed_size: 0
    .sgpr_count:     18
    .sgpr_spill_count: 0
    .symbol:         _Z11fill_kernelI12hipblaslt_f8Z21hipblaslt_init_deviceIS0_Ev8ABC_dims24hipblaslt_initializationbPT_mmmmmEUlmE0_EvS5_mmT0_.kd
    .uniform_work_group_size: 1
    .uses_dynamic_stack: false
    .vgpr_count:     14
    .vgpr_spill_count: 0
    .wavefront_size: 32
    .workgroup_processor_mode: 1
  - .args:
      - .address_space:  global
        .offset:         0
        .size:           8
        .value_kind:     global_buffer
      - .offset:         8
        .size:           8
        .value_kind:     by_value
      - .offset:         16
        .size:           8
        .value_kind:     by_value
      - .offset:         24
        .size:           16
        .value_kind:     by_value
      - .offset:         40
        .size:           4
        .value_kind:     hidden_block_count_x
      - .offset:         44
        .size:           4
        .value_kind:     hidden_block_count_y
      - .offset:         48
        .size:           4
        .value_kind:     hidden_block_count_z
      - .offset:         52
        .size:           2
        .value_kind:     hidden_group_size_x
      - .offset:         54
        .size:           2
        .value_kind:     hidden_group_size_y
      - .offset:         56
        .size:           2
        .value_kind:     hidden_group_size_z
      - .offset:         58
        .size:           2
        .value_kind:     hidden_remainder_x
      - .offset:         60
        .size:           2
        .value_kind:     hidden_remainder_y
      - .offset:         62
        .size:           2
        .value_kind:     hidden_remainder_z
      - .offset:         80
        .size:           8
        .value_kind:     hidden_global_offset_x
      - .offset:         88
        .size:           8
        .value_kind:     hidden_global_offset_y
      - .offset:         96
        .size:           8
        .value_kind:     hidden_global_offset_z
      - .offset:         104
        .size:           2
        .value_kind:     hidden_grid_dims
    .group_segment_fixed_size: 0
    .kernarg_segment_align: 8
    .kernarg_segment_size: 296
    .language:       OpenCL C
    .language_version:
      - 2
      - 0
    .max_flat_workgroup_size: 1024
    .name:           _Z11fill_kernelI12hipblaslt_f8Z21hipblaslt_init_deviceIS0_Ev8ABC_dims24hipblaslt_initializationbPT_mmmmmEUlmE1_EvS5_mmT0_
    .private_segment_fixed_size: 0
    .sgpr_count:     18
    .sgpr_spill_count: 0
    .symbol:         _Z11fill_kernelI12hipblaslt_f8Z21hipblaslt_init_deviceIS0_Ev8ABC_dims24hipblaslt_initializationbPT_mmmmmEUlmE1_EvS5_mmT0_.kd
    .uniform_work_group_size: 1
    .uses_dynamic_stack: false
    .vgpr_count:     14
    .vgpr_spill_count: 0
    .wavefront_size: 32
    .workgroup_processor_mode: 1
  - .args:
      - .address_space:  global
        .offset:         0
        .size:           8
        .value_kind:     global_buffer
      - .offset:         8
        .size:           8
        .value_kind:     by_value
      - .offset:         16
        .size:           8
        .value_kind:     by_value
      - .offset:         24
        .size:           32
        .value_kind:     by_value
      - .offset:         56
        .size:           4
        .value_kind:     hidden_block_count_x
      - .offset:         60
        .size:           4
        .value_kind:     hidden_block_count_y
      - .offset:         64
        .size:           4
        .value_kind:     hidden_block_count_z
      - .offset:         68
        .size:           2
        .value_kind:     hidden_group_size_x
      - .offset:         70
        .size:           2
        .value_kind:     hidden_group_size_y
      - .offset:         72
        .size:           2
        .value_kind:     hidden_group_size_z
      - .offset:         74
        .size:           2
        .value_kind:     hidden_remainder_x
      - .offset:         76
        .size:           2
        .value_kind:     hidden_remainder_y
      - .offset:         78
        .size:           2
        .value_kind:     hidden_remainder_z
      - .offset:         96
        .size:           8
        .value_kind:     hidden_global_offset_x
      - .offset:         104
        .size:           8
        .value_kind:     hidden_global_offset_y
      - .offset:         112
        .size:           8
        .value_kind:     hidden_global_offset_z
      - .offset:         120
        .size:           2
        .value_kind:     hidden_grid_dims
    .group_segment_fixed_size: 0
    .kernarg_segment_align: 8
    .kernarg_segment_size: 312
    .language:       OpenCL C
    .language_version:
      - 2
      - 0
    .max_flat_workgroup_size: 1024
    .name:           _Z11fill_kernelI12hipblaslt_f8Z21hipblaslt_init_deviceIS0_Ev8ABC_dims24hipblaslt_initializationbPT_mmmmmEUlmE2_EvS5_mmT0_
    .private_segment_fixed_size: 0
    .sgpr_count:     22
    .sgpr_spill_count: 0
    .symbol:         _Z11fill_kernelI12hipblaslt_f8Z21hipblaslt_init_deviceIS0_Ev8ABC_dims24hipblaslt_initializationbPT_mmmmmEUlmE2_EvS5_mmT0_.kd
    .uniform_work_group_size: 1
    .uses_dynamic_stack: false
    .vgpr_count:     33
    .vgpr_spill_count: 0
    .wavefront_size: 32
    .workgroup_processor_mode: 1
  - .args:
      - .address_space:  global
        .offset:         0
        .size:           8
        .value_kind:     global_buffer
      - .offset:         8
        .size:           8
        .value_kind:     by_value
      - .offset:         16
        .size:           8
        .value_kind:     by_value
      - .offset:         24
        .size:           32
        .value_kind:     by_value
      - .offset:         56
        .size:           4
        .value_kind:     hidden_block_count_x
      - .offset:         60
        .size:           4
        .value_kind:     hidden_block_count_y
      - .offset:         64
        .size:           4
        .value_kind:     hidden_block_count_z
      - .offset:         68
        .size:           2
        .value_kind:     hidden_group_size_x
      - .offset:         70
        .size:           2
        .value_kind:     hidden_group_size_y
      - .offset:         72
        .size:           2
        .value_kind:     hidden_group_size_z
      - .offset:         74
        .size:           2
        .value_kind:     hidden_remainder_x
      - .offset:         76
        .size:           2
        .value_kind:     hidden_remainder_y
      - .offset:         78
        .size:           2
        .value_kind:     hidden_remainder_z
      - .offset:         96
        .size:           8
        .value_kind:     hidden_global_offset_x
      - .offset:         104
        .size:           8
        .value_kind:     hidden_global_offset_y
      - .offset:         112
        .size:           8
        .value_kind:     hidden_global_offset_z
      - .offset:         120
        .size:           2
        .value_kind:     hidden_grid_dims
    .group_segment_fixed_size: 0
    .kernarg_segment_align: 8
    .kernarg_segment_size: 312
    .language:       OpenCL C
    .language_version:
      - 2
      - 0
    .max_flat_workgroup_size: 1024
    .name:           _Z11fill_kernelI12hipblaslt_f8Z21hipblaslt_init_deviceIS0_Ev8ABC_dims24hipblaslt_initializationbPT_mmmmmEUlmE3_EvS5_mmT0_
    .private_segment_fixed_size: 0
    .sgpr_count:     22
    .sgpr_spill_count: 0
    .symbol:         _Z11fill_kernelI12hipblaslt_f8Z21hipblaslt_init_deviceIS0_Ev8ABC_dims24hipblaslt_initializationbPT_mmmmmEUlmE3_EvS5_mmT0_.kd
    .uniform_work_group_size: 1
    .uses_dynamic_stack: false
    .vgpr_count:     33
    .vgpr_spill_count: 0
    .wavefront_size: 32
    .workgroup_processor_mode: 1
  - .args:
      - .address_space:  global
        .offset:         0
        .size:           8
        .value_kind:     global_buffer
      - .offset:         8
        .size:           8
        .value_kind:     by_value
      - .offset:         16
        .size:           8
        .value_kind:     by_value
      - .offset:         24
        .size:           1
        .value_kind:     by_value
      - .offset:         32
        .size:           4
        .value_kind:     hidden_block_count_x
      - .offset:         36
        .size:           4
        .value_kind:     hidden_block_count_y
      - .offset:         40
        .size:           4
        .value_kind:     hidden_block_count_z
      - .offset:         44
        .size:           2
        .value_kind:     hidden_group_size_x
      - .offset:         46
        .size:           2
        .value_kind:     hidden_group_size_y
      - .offset:         48
        .size:           2
        .value_kind:     hidden_group_size_z
      - .offset:         50
        .size:           2
        .value_kind:     hidden_remainder_x
      - .offset:         52
        .size:           2
        .value_kind:     hidden_remainder_y
      - .offset:         54
        .size:           2
        .value_kind:     hidden_remainder_z
      - .offset:         72
        .size:           8
        .value_kind:     hidden_global_offset_x
      - .offset:         80
        .size:           8
        .value_kind:     hidden_global_offset_y
      - .offset:         88
        .size:           8
        .value_kind:     hidden_global_offset_z
      - .offset:         96
        .size:           2
        .value_kind:     hidden_grid_dims
    .group_segment_fixed_size: 0
    .kernarg_segment_align: 8
    .kernarg_segment_size: 288
    .language:       OpenCL C
    .language_version:
      - 2
      - 0
    .max_flat_workgroup_size: 1024
    .name:           _Z11fill_kernelI12hipblaslt_f8Z21hipblaslt_init_deviceIS0_Ev8ABC_dims24hipblaslt_initializationbPT_mmmmmEUlmE4_EvS5_mmT0_
    .private_segment_fixed_size: 0
    .sgpr_count:     18
    .sgpr_spill_count: 0
    .symbol:         _Z11fill_kernelI12hipblaslt_f8Z21hipblaslt_init_deviceIS0_Ev8ABC_dims24hipblaslt_initializationbPT_mmmmmEUlmE4_EvS5_mmT0_.kd
    .uniform_work_group_size: 1
    .uses_dynamic_stack: false
    .vgpr_count:     15
    .vgpr_spill_count: 0
    .wavefront_size: 32
    .workgroup_processor_mode: 1
  - .args:
      - .address_space:  global
        .offset:         0
        .size:           8
        .value_kind:     global_buffer
      - .offset:         8
        .size:           8
        .value_kind:     by_value
      - .offset:         16
        .size:           8
        .value_kind:     by_value
      - .offset:         24
        .size:           1
        .value_kind:     by_value
      - .offset:         32
        .size:           4
        .value_kind:     hidden_block_count_x
      - .offset:         36
        .size:           4
        .value_kind:     hidden_block_count_y
      - .offset:         40
        .size:           4
        .value_kind:     hidden_block_count_z
      - .offset:         44
        .size:           2
        .value_kind:     hidden_group_size_x
      - .offset:         46
        .size:           2
        .value_kind:     hidden_group_size_y
      - .offset:         48
        .size:           2
        .value_kind:     hidden_group_size_z
      - .offset:         50
        .size:           2
        .value_kind:     hidden_remainder_x
      - .offset:         52
        .size:           2
        .value_kind:     hidden_remainder_y
      - .offset:         54
        .size:           2
        .value_kind:     hidden_remainder_z
      - .offset:         72
        .size:           8
        .value_kind:     hidden_global_offset_x
      - .offset:         80
        .size:           8
        .value_kind:     hidden_global_offset_y
      - .offset:         88
        .size:           8
        .value_kind:     hidden_global_offset_z
      - .offset:         96
        .size:           2
        .value_kind:     hidden_grid_dims
    .group_segment_fixed_size: 0
    .kernarg_segment_align: 8
    .kernarg_segment_size: 288
    .language:       OpenCL C
    .language_version:
      - 2
      - 0
    .max_flat_workgroup_size: 1024
    .name:           _Z11fill_kernelI12hipblaslt_f8Z21hipblaslt_init_deviceIS0_Ev8ABC_dims24hipblaslt_initializationbPT_mmmmmEUlmE5_EvS5_mmT0_
    .private_segment_fixed_size: 0
    .sgpr_count:     16
    .sgpr_spill_count: 0
    .symbol:         _Z11fill_kernelI12hipblaslt_f8Z21hipblaslt_init_deviceIS0_Ev8ABC_dims24hipblaslt_initializationbPT_mmmmmEUlmE5_EvS5_mmT0_.kd
    .uniform_work_group_size: 1
    .uses_dynamic_stack: false
    .vgpr_count:     3
    .vgpr_spill_count: 0
    .wavefront_size: 32
    .workgroup_processor_mode: 1
  - .args:
      - .address_space:  global
        .offset:         0
        .size:           8
        .value_kind:     global_buffer
      - .offset:         8
        .size:           8
        .value_kind:     by_value
      - .offset:         16
        .size:           8
        .value_kind:     by_value
      - .offset:         24
        .size:           1
        .value_kind:     by_value
      - .offset:         32
        .size:           4
        .value_kind:     hidden_block_count_x
      - .offset:         36
        .size:           4
        .value_kind:     hidden_block_count_y
      - .offset:         40
        .size:           4
        .value_kind:     hidden_block_count_z
      - .offset:         44
        .size:           2
        .value_kind:     hidden_group_size_x
      - .offset:         46
        .size:           2
        .value_kind:     hidden_group_size_y
      - .offset:         48
        .size:           2
        .value_kind:     hidden_group_size_z
      - .offset:         50
        .size:           2
        .value_kind:     hidden_remainder_x
      - .offset:         52
        .size:           2
        .value_kind:     hidden_remainder_y
      - .offset:         54
        .size:           2
        .value_kind:     hidden_remainder_z
      - .offset:         72
        .size:           8
        .value_kind:     hidden_global_offset_x
      - .offset:         80
        .size:           8
        .value_kind:     hidden_global_offset_y
      - .offset:         88
        .size:           8
        .value_kind:     hidden_global_offset_z
      - .offset:         96
        .size:           2
        .value_kind:     hidden_grid_dims
    .group_segment_fixed_size: 0
    .kernarg_segment_align: 8
    .kernarg_segment_size: 288
    .language:       OpenCL C
    .language_version:
      - 2
      - 0
    .max_flat_workgroup_size: 1024
    .name:           _Z11fill_kernelI12hipblaslt_f8Z21hipblaslt_init_deviceIS0_Ev8ABC_dims24hipblaslt_initializationbPT_mmmmmEUlmE6_EvS5_mmT0_
    .private_segment_fixed_size: 0
    .sgpr_count:     16
    .sgpr_spill_count: 0
    .symbol:         _Z11fill_kernelI12hipblaslt_f8Z21hipblaslt_init_deviceIS0_Ev8ABC_dims24hipblaslt_initializationbPT_mmmmmEUlmE6_EvS5_mmT0_.kd
    .uniform_work_group_size: 1
    .uses_dynamic_stack: false
    .vgpr_count:     3
    .vgpr_spill_count: 0
    .wavefront_size: 32
    .workgroup_processor_mode: 1
  - .args:
      - .address_space:  global
        .offset:         0
        .size:           8
        .value_kind:     global_buffer
      - .offset:         8
        .size:           8
        .value_kind:     by_value
      - .offset:         16
        .size:           8
        .value_kind:     by_value
      - .offset:         24
        .size:           1
        .value_kind:     by_value
      - .offset:         32
        .size:           4
        .value_kind:     hidden_block_count_x
      - .offset:         36
        .size:           4
        .value_kind:     hidden_block_count_y
      - .offset:         40
        .size:           4
        .value_kind:     hidden_block_count_z
      - .offset:         44
        .size:           2
        .value_kind:     hidden_group_size_x
      - .offset:         46
        .size:           2
        .value_kind:     hidden_group_size_y
      - .offset:         48
        .size:           2
        .value_kind:     hidden_group_size_z
      - .offset:         50
        .size:           2
        .value_kind:     hidden_remainder_x
      - .offset:         52
        .size:           2
        .value_kind:     hidden_remainder_y
      - .offset:         54
        .size:           2
        .value_kind:     hidden_remainder_z
      - .offset:         72
        .size:           8
        .value_kind:     hidden_global_offset_x
      - .offset:         80
        .size:           8
        .value_kind:     hidden_global_offset_y
      - .offset:         88
        .size:           8
        .value_kind:     hidden_global_offset_z
      - .offset:         96
        .size:           2
        .value_kind:     hidden_grid_dims
    .group_segment_fixed_size: 0
    .kernarg_segment_align: 8
    .kernarg_segment_size: 288
    .language:       OpenCL C
    .language_version:
      - 2
      - 0
    .max_flat_workgroup_size: 1024
    .name:           _Z11fill_kernelI12hipblaslt_f8Z21hipblaslt_init_deviceIS0_Ev8ABC_dims24hipblaslt_initializationbPT_mmmmmEUlmE7_EvS5_mmT0_
    .private_segment_fixed_size: 0
    .sgpr_count:     18
    .sgpr_spill_count: 0
    .symbol:         _Z11fill_kernelI12hipblaslt_f8Z21hipblaslt_init_deviceIS0_Ev8ABC_dims24hipblaslt_initializationbPT_mmmmmEUlmE7_EvS5_mmT0_.kd
    .uniform_work_group_size: 1
    .uses_dynamic_stack: false
    .vgpr_count:     14
    .vgpr_spill_count: 0
    .wavefront_size: 32
    .workgroup_processor_mode: 1
  - .args:
      - .address_space:  global
        .offset:         0
        .size:           8
        .value_kind:     global_buffer
      - .offset:         8
        .size:           8
        .value_kind:     by_value
      - .offset:         16
        .size:           8
        .value_kind:     by_value
      - .offset:         24
        .size:           1
        .value_kind:     by_value
      - .offset:         32
        .size:           4
        .value_kind:     hidden_block_count_x
      - .offset:         36
        .size:           4
        .value_kind:     hidden_block_count_y
      - .offset:         40
        .size:           4
        .value_kind:     hidden_block_count_z
      - .offset:         44
        .size:           2
        .value_kind:     hidden_group_size_x
      - .offset:         46
        .size:           2
        .value_kind:     hidden_group_size_y
      - .offset:         48
        .size:           2
        .value_kind:     hidden_group_size_z
      - .offset:         50
        .size:           2
        .value_kind:     hidden_remainder_x
      - .offset:         52
        .size:           2
        .value_kind:     hidden_remainder_y
      - .offset:         54
        .size:           2
        .value_kind:     hidden_remainder_z
      - .offset:         72
        .size:           8
        .value_kind:     hidden_global_offset_x
      - .offset:         80
        .size:           8
        .value_kind:     hidden_global_offset_y
      - .offset:         88
        .size:           8
        .value_kind:     hidden_global_offset_z
      - .offset:         96
        .size:           2
        .value_kind:     hidden_grid_dims
    .group_segment_fixed_size: 0
    .kernarg_segment_align: 8
    .kernarg_segment_size: 288
    .language:       OpenCL C
    .language_version:
      - 2
      - 0
    .max_flat_workgroup_size: 1024
    .name:           _Z11fill_kernelI12hipblaslt_f8Z21hipblaslt_init_deviceIS0_Ev8ABC_dims24hipblaslt_initializationbPT_mmmmmEUlmE8_EvS5_mmT0_
    .private_segment_fixed_size: 0
    .sgpr_count:     16
    .sgpr_spill_count: 0
    .symbol:         _Z11fill_kernelI12hipblaslt_f8Z21hipblaslt_init_deviceIS0_Ev8ABC_dims24hipblaslt_initializationbPT_mmmmmEUlmE8_EvS5_mmT0_.kd
    .uniform_work_group_size: 1
    .uses_dynamic_stack: false
    .vgpr_count:     3
    .vgpr_spill_count: 0
    .wavefront_size: 32
    .workgroup_processor_mode: 1
  - .args:
      - .address_space:  global
        .offset:         0
        .size:           8
        .value_kind:     global_buffer
      - .offset:         8
        .size:           8
        .value_kind:     by_value
      - .offset:         16
        .size:           8
        .value_kind:     by_value
      - .offset:         24
        .size:           4
        .value_kind:     by_value
      - .offset:         32
        .size:           4
        .value_kind:     hidden_block_count_x
      - .offset:         36
        .size:           4
        .value_kind:     hidden_block_count_y
      - .offset:         40
        .size:           4
        .value_kind:     hidden_block_count_z
      - .offset:         44
        .size:           2
        .value_kind:     hidden_group_size_x
      - .offset:         46
        .size:           2
        .value_kind:     hidden_group_size_y
      - .offset:         48
        .size:           2
        .value_kind:     hidden_group_size_z
      - .offset:         50
        .size:           2
        .value_kind:     hidden_remainder_x
      - .offset:         52
        .size:           2
        .value_kind:     hidden_remainder_y
      - .offset:         54
        .size:           2
        .value_kind:     hidden_remainder_z
      - .offset:         72
        .size:           8
        .value_kind:     hidden_global_offset_x
      - .offset:         80
        .size:           8
        .value_kind:     hidden_global_offset_y
      - .offset:         88
        .size:           8
        .value_kind:     hidden_global_offset_z
      - .offset:         96
        .size:           2
        .value_kind:     hidden_grid_dims
    .group_segment_fixed_size: 0
    .kernarg_segment_align: 8
    .kernarg_segment_size: 288
    .language:       OpenCL C
    .language_version:
      - 2
      - 0
    .max_flat_workgroup_size: 1024
    .name:           _Z11fill_kernelI12hipblaslt_f8Z21hipblaslt_init_deviceIS0_Ev8ABC_dims24hipblaslt_initializationbPT_mmmmmEUlmE9_EvS5_mmT0_
    .private_segment_fixed_size: 0
    .sgpr_count:     18
    .sgpr_spill_count: 0
    .symbol:         _Z11fill_kernelI12hipblaslt_f8Z21hipblaslt_init_deviceIS0_Ev8ABC_dims24hipblaslt_initializationbPT_mmmmmEUlmE9_EvS5_mmT0_.kd
    .uniform_work_group_size: 1
    .uses_dynamic_stack: false
    .vgpr_count:     17
    .vgpr_spill_count: 0
    .wavefront_size: 32
    .workgroup_processor_mode: 1
  - .args:
      - .address_space:  global
        .offset:         0
        .size:           8
        .value_kind:     global_buffer
      - .offset:         8
        .size:           8
        .value_kind:     by_value
      - .offset:         16
        .size:           8
        .value_kind:     by_value
      - .offset:         24
        .size:           100
        .value_kind:     by_value
      - .offset:         128
        .size:           4
        .value_kind:     hidden_block_count_x
      - .offset:         132
        .size:           4
        .value_kind:     hidden_block_count_y
      - .offset:         136
        .size:           4
        .value_kind:     hidden_block_count_z
      - .offset:         140
        .size:           2
        .value_kind:     hidden_group_size_x
      - .offset:         142
        .size:           2
        .value_kind:     hidden_group_size_y
      - .offset:         144
        .size:           2
        .value_kind:     hidden_group_size_z
      - .offset:         146
        .size:           2
        .value_kind:     hidden_remainder_x
      - .offset:         148
        .size:           2
        .value_kind:     hidden_remainder_y
      - .offset:         150
        .size:           2
        .value_kind:     hidden_remainder_z
      - .offset:         168
        .size:           8
        .value_kind:     hidden_global_offset_x
      - .offset:         176
        .size:           8
        .value_kind:     hidden_global_offset_y
      - .offset:         184
        .size:           8
        .value_kind:     hidden_global_offset_z
      - .offset:         192
        .size:           2
        .value_kind:     hidden_grid_dims
    .group_segment_fixed_size: 0
    .kernarg_segment_align: 8
    .kernarg_segment_size: 384
    .language:       OpenCL C
    .language_version:
      - 2
      - 0
    .max_flat_workgroup_size: 1024
    .name:           _Z11fill_kernelI13hipblaslt_bf8Z21hipblaslt_init_deviceIS0_Ev8ABC_dims24hipblaslt_initializationbPT_mmmmmEUlmE_EvS5_mmT0_
    .private_segment_fixed_size: 0
    .sgpr_count:     18
    .sgpr_spill_count: 0
    .symbol:         _Z11fill_kernelI13hipblaslt_bf8Z21hipblaslt_init_deviceIS0_Ev8ABC_dims24hipblaslt_initializationbPT_mmmmmEUlmE_EvS5_mmT0_.kd
    .uniform_work_group_size: 1
    .uses_dynamic_stack: false
    .vgpr_count:     6
    .vgpr_spill_count: 0
    .wavefront_size: 32
    .workgroup_processor_mode: 1
  - .args:
      - .address_space:  global
        .offset:         0
        .size:           8
        .value_kind:     global_buffer
      - .offset:         8
        .size:           8
        .value_kind:     by_value
      - .offset:         16
        .size:           8
        .value_kind:     by_value
      - .offset:         24
        .size:           1
        .value_kind:     by_value
      - .offset:         32
        .size:           4
        .value_kind:     hidden_block_count_x
      - .offset:         36
        .size:           4
        .value_kind:     hidden_block_count_y
      - .offset:         40
        .size:           4
        .value_kind:     hidden_block_count_z
      - .offset:         44
        .size:           2
        .value_kind:     hidden_group_size_x
      - .offset:         46
        .size:           2
        .value_kind:     hidden_group_size_y
      - .offset:         48
        .size:           2
        .value_kind:     hidden_group_size_z
      - .offset:         50
        .size:           2
        .value_kind:     hidden_remainder_x
      - .offset:         52
        .size:           2
        .value_kind:     hidden_remainder_y
      - .offset:         54
        .size:           2
        .value_kind:     hidden_remainder_z
      - .offset:         72
        .size:           8
        .value_kind:     hidden_global_offset_x
      - .offset:         80
        .size:           8
        .value_kind:     hidden_global_offset_y
      - .offset:         88
        .size:           8
        .value_kind:     hidden_global_offset_z
      - .offset:         96
        .size:           2
        .value_kind:     hidden_grid_dims
    .group_segment_fixed_size: 0
    .kernarg_segment_align: 8
    .kernarg_segment_size: 288
    .language:       OpenCL C
    .language_version:
      - 2
      - 0
    .max_flat_workgroup_size: 1024
    .name:           _Z11fill_kernelI13hipblaslt_bf8Z21hipblaslt_init_deviceIS0_Ev8ABC_dims24hipblaslt_initializationbPT_mmmmmEUlmE0_EvS5_mmT0_
    .private_segment_fixed_size: 0
    .sgpr_count:     18
    .sgpr_spill_count: 0
    .symbol:         _Z11fill_kernelI13hipblaslt_bf8Z21hipblaslt_init_deviceIS0_Ev8ABC_dims24hipblaslt_initializationbPT_mmmmmEUlmE0_EvS5_mmT0_.kd
    .uniform_work_group_size: 1
    .uses_dynamic_stack: false
    .vgpr_count:     14
    .vgpr_spill_count: 0
    .wavefront_size: 32
    .workgroup_processor_mode: 1
  - .args:
      - .address_space:  global
        .offset:         0
        .size:           8
        .value_kind:     global_buffer
      - .offset:         8
        .size:           8
        .value_kind:     by_value
      - .offset:         16
        .size:           8
        .value_kind:     by_value
      - .offset:         24
        .size:           16
        .value_kind:     by_value
      - .offset:         40
        .size:           4
        .value_kind:     hidden_block_count_x
      - .offset:         44
        .size:           4
        .value_kind:     hidden_block_count_y
      - .offset:         48
        .size:           4
        .value_kind:     hidden_block_count_z
      - .offset:         52
        .size:           2
        .value_kind:     hidden_group_size_x
      - .offset:         54
        .size:           2
        .value_kind:     hidden_group_size_y
      - .offset:         56
        .size:           2
        .value_kind:     hidden_group_size_z
      - .offset:         58
        .size:           2
        .value_kind:     hidden_remainder_x
      - .offset:         60
        .size:           2
        .value_kind:     hidden_remainder_y
      - .offset:         62
        .size:           2
        .value_kind:     hidden_remainder_z
      - .offset:         80
        .size:           8
        .value_kind:     hidden_global_offset_x
      - .offset:         88
        .size:           8
        .value_kind:     hidden_global_offset_y
      - .offset:         96
        .size:           8
        .value_kind:     hidden_global_offset_z
      - .offset:         104
        .size:           2
        .value_kind:     hidden_grid_dims
    .group_segment_fixed_size: 0
    .kernarg_segment_align: 8
    .kernarg_segment_size: 296
    .language:       OpenCL C
    .language_version:
      - 2
      - 0
    .max_flat_workgroup_size: 1024
    .name:           _Z11fill_kernelI13hipblaslt_bf8Z21hipblaslt_init_deviceIS0_Ev8ABC_dims24hipblaslt_initializationbPT_mmmmmEUlmE1_EvS5_mmT0_
    .private_segment_fixed_size: 0
    .sgpr_count:     18
    .sgpr_spill_count: 0
    .symbol:         _Z11fill_kernelI13hipblaslt_bf8Z21hipblaslt_init_deviceIS0_Ev8ABC_dims24hipblaslt_initializationbPT_mmmmmEUlmE1_EvS5_mmT0_.kd
    .uniform_work_group_size: 1
    .uses_dynamic_stack: false
    .vgpr_count:     14
    .vgpr_spill_count: 0
    .wavefront_size: 32
    .workgroup_processor_mode: 1
  - .args:
      - .address_space:  global
        .offset:         0
        .size:           8
        .value_kind:     global_buffer
      - .offset:         8
        .size:           8
        .value_kind:     by_value
      - .offset:         16
        .size:           8
        .value_kind:     by_value
      - .offset:         24
        .size:           32
        .value_kind:     by_value
      - .offset:         56
        .size:           4
        .value_kind:     hidden_block_count_x
      - .offset:         60
        .size:           4
        .value_kind:     hidden_block_count_y
      - .offset:         64
        .size:           4
        .value_kind:     hidden_block_count_z
      - .offset:         68
        .size:           2
        .value_kind:     hidden_group_size_x
      - .offset:         70
        .size:           2
        .value_kind:     hidden_group_size_y
      - .offset:         72
        .size:           2
        .value_kind:     hidden_group_size_z
      - .offset:         74
        .size:           2
        .value_kind:     hidden_remainder_x
      - .offset:         76
        .size:           2
        .value_kind:     hidden_remainder_y
      - .offset:         78
        .size:           2
        .value_kind:     hidden_remainder_z
      - .offset:         96
        .size:           8
        .value_kind:     hidden_global_offset_x
      - .offset:         104
        .size:           8
        .value_kind:     hidden_global_offset_y
      - .offset:         112
        .size:           8
        .value_kind:     hidden_global_offset_z
      - .offset:         120
        .size:           2
        .value_kind:     hidden_grid_dims
    .group_segment_fixed_size: 0
    .kernarg_segment_align: 8
    .kernarg_segment_size: 312
    .language:       OpenCL C
    .language_version:
      - 2
      - 0
    .max_flat_workgroup_size: 1024
    .name:           _Z11fill_kernelI13hipblaslt_bf8Z21hipblaslt_init_deviceIS0_Ev8ABC_dims24hipblaslt_initializationbPT_mmmmmEUlmE2_EvS5_mmT0_
    .private_segment_fixed_size: 0
    .sgpr_count:     22
    .sgpr_spill_count: 0
    .symbol:         _Z11fill_kernelI13hipblaslt_bf8Z21hipblaslt_init_deviceIS0_Ev8ABC_dims24hipblaslt_initializationbPT_mmmmmEUlmE2_EvS5_mmT0_.kd
    .uniform_work_group_size: 1
    .uses_dynamic_stack: false
    .vgpr_count:     33
    .vgpr_spill_count: 0
    .wavefront_size: 32
    .workgroup_processor_mode: 1
  - .args:
      - .address_space:  global
        .offset:         0
        .size:           8
        .value_kind:     global_buffer
      - .offset:         8
        .size:           8
        .value_kind:     by_value
      - .offset:         16
        .size:           8
        .value_kind:     by_value
      - .offset:         24
        .size:           32
        .value_kind:     by_value
      - .offset:         56
        .size:           4
        .value_kind:     hidden_block_count_x
      - .offset:         60
        .size:           4
        .value_kind:     hidden_block_count_y
      - .offset:         64
        .size:           4
        .value_kind:     hidden_block_count_z
      - .offset:         68
        .size:           2
        .value_kind:     hidden_group_size_x
      - .offset:         70
        .size:           2
        .value_kind:     hidden_group_size_y
      - .offset:         72
        .size:           2
        .value_kind:     hidden_group_size_z
      - .offset:         74
        .size:           2
        .value_kind:     hidden_remainder_x
      - .offset:         76
        .size:           2
        .value_kind:     hidden_remainder_y
      - .offset:         78
        .size:           2
        .value_kind:     hidden_remainder_z
      - .offset:         96
        .size:           8
        .value_kind:     hidden_global_offset_x
      - .offset:         104
        .size:           8
        .value_kind:     hidden_global_offset_y
      - .offset:         112
        .size:           8
        .value_kind:     hidden_global_offset_z
      - .offset:         120
        .size:           2
        .value_kind:     hidden_grid_dims
    .group_segment_fixed_size: 0
    .kernarg_segment_align: 8
    .kernarg_segment_size: 312
    .language:       OpenCL C
    .language_version:
      - 2
      - 0
    .max_flat_workgroup_size: 1024
    .name:           _Z11fill_kernelI13hipblaslt_bf8Z21hipblaslt_init_deviceIS0_Ev8ABC_dims24hipblaslt_initializationbPT_mmmmmEUlmE3_EvS5_mmT0_
    .private_segment_fixed_size: 0
    .sgpr_count:     22
    .sgpr_spill_count: 0
    .symbol:         _Z11fill_kernelI13hipblaslt_bf8Z21hipblaslt_init_deviceIS0_Ev8ABC_dims24hipblaslt_initializationbPT_mmmmmEUlmE3_EvS5_mmT0_.kd
    .uniform_work_group_size: 1
    .uses_dynamic_stack: false
    .vgpr_count:     33
    .vgpr_spill_count: 0
    .wavefront_size: 32
    .workgroup_processor_mode: 1
  - .args:
      - .address_space:  global
        .offset:         0
        .size:           8
        .value_kind:     global_buffer
      - .offset:         8
        .size:           8
        .value_kind:     by_value
      - .offset:         16
        .size:           8
        .value_kind:     by_value
      - .offset:         24
        .size:           1
        .value_kind:     by_value
      - .offset:         32
        .size:           4
        .value_kind:     hidden_block_count_x
      - .offset:         36
        .size:           4
        .value_kind:     hidden_block_count_y
      - .offset:         40
        .size:           4
        .value_kind:     hidden_block_count_z
      - .offset:         44
        .size:           2
        .value_kind:     hidden_group_size_x
      - .offset:         46
        .size:           2
        .value_kind:     hidden_group_size_y
      - .offset:         48
        .size:           2
        .value_kind:     hidden_group_size_z
      - .offset:         50
        .size:           2
        .value_kind:     hidden_remainder_x
      - .offset:         52
        .size:           2
        .value_kind:     hidden_remainder_y
      - .offset:         54
        .size:           2
        .value_kind:     hidden_remainder_z
      - .offset:         72
        .size:           8
        .value_kind:     hidden_global_offset_x
      - .offset:         80
        .size:           8
        .value_kind:     hidden_global_offset_y
      - .offset:         88
        .size:           8
        .value_kind:     hidden_global_offset_z
      - .offset:         96
        .size:           2
        .value_kind:     hidden_grid_dims
    .group_segment_fixed_size: 0
    .kernarg_segment_align: 8
    .kernarg_segment_size: 288
    .language:       OpenCL C
    .language_version:
      - 2
      - 0
    .max_flat_workgroup_size: 1024
    .name:           _Z11fill_kernelI13hipblaslt_bf8Z21hipblaslt_init_deviceIS0_Ev8ABC_dims24hipblaslt_initializationbPT_mmmmmEUlmE4_EvS5_mmT0_
    .private_segment_fixed_size: 0
    .sgpr_count:     18
    .sgpr_spill_count: 0
    .symbol:         _Z11fill_kernelI13hipblaslt_bf8Z21hipblaslt_init_deviceIS0_Ev8ABC_dims24hipblaslt_initializationbPT_mmmmmEUlmE4_EvS5_mmT0_.kd
    .uniform_work_group_size: 1
    .uses_dynamic_stack: false
    .vgpr_count:     15
    .vgpr_spill_count: 0
    .wavefront_size: 32
    .workgroup_processor_mode: 1
  - .args:
      - .address_space:  global
        .offset:         0
        .size:           8
        .value_kind:     global_buffer
      - .offset:         8
        .size:           8
        .value_kind:     by_value
      - .offset:         16
        .size:           8
        .value_kind:     by_value
      - .offset:         24
        .size:           1
        .value_kind:     by_value
      - .offset:         32
        .size:           4
        .value_kind:     hidden_block_count_x
      - .offset:         36
        .size:           4
        .value_kind:     hidden_block_count_y
      - .offset:         40
        .size:           4
        .value_kind:     hidden_block_count_z
      - .offset:         44
        .size:           2
        .value_kind:     hidden_group_size_x
      - .offset:         46
        .size:           2
        .value_kind:     hidden_group_size_y
      - .offset:         48
        .size:           2
        .value_kind:     hidden_group_size_z
      - .offset:         50
        .size:           2
        .value_kind:     hidden_remainder_x
      - .offset:         52
        .size:           2
        .value_kind:     hidden_remainder_y
      - .offset:         54
        .size:           2
        .value_kind:     hidden_remainder_z
      - .offset:         72
        .size:           8
        .value_kind:     hidden_global_offset_x
      - .offset:         80
        .size:           8
        .value_kind:     hidden_global_offset_y
      - .offset:         88
        .size:           8
        .value_kind:     hidden_global_offset_z
      - .offset:         96
        .size:           2
        .value_kind:     hidden_grid_dims
    .group_segment_fixed_size: 0
    .kernarg_segment_align: 8
    .kernarg_segment_size: 288
    .language:       OpenCL C
    .language_version:
      - 2
      - 0
    .max_flat_workgroup_size: 1024
    .name:           _Z11fill_kernelI13hipblaslt_bf8Z21hipblaslt_init_deviceIS0_Ev8ABC_dims24hipblaslt_initializationbPT_mmmmmEUlmE5_EvS5_mmT0_
    .private_segment_fixed_size: 0
    .sgpr_count:     16
    .sgpr_spill_count: 0
    .symbol:         _Z11fill_kernelI13hipblaslt_bf8Z21hipblaslt_init_deviceIS0_Ev8ABC_dims24hipblaslt_initializationbPT_mmmmmEUlmE5_EvS5_mmT0_.kd
    .uniform_work_group_size: 1
    .uses_dynamic_stack: false
    .vgpr_count:     3
    .vgpr_spill_count: 0
    .wavefront_size: 32
    .workgroup_processor_mode: 1
  - .args:
      - .address_space:  global
        .offset:         0
        .size:           8
        .value_kind:     global_buffer
      - .offset:         8
        .size:           8
        .value_kind:     by_value
      - .offset:         16
        .size:           8
        .value_kind:     by_value
      - .offset:         24
        .size:           1
        .value_kind:     by_value
      - .offset:         32
        .size:           4
        .value_kind:     hidden_block_count_x
      - .offset:         36
        .size:           4
        .value_kind:     hidden_block_count_y
      - .offset:         40
        .size:           4
        .value_kind:     hidden_block_count_z
      - .offset:         44
        .size:           2
        .value_kind:     hidden_group_size_x
      - .offset:         46
        .size:           2
        .value_kind:     hidden_group_size_y
      - .offset:         48
        .size:           2
        .value_kind:     hidden_group_size_z
      - .offset:         50
        .size:           2
        .value_kind:     hidden_remainder_x
      - .offset:         52
        .size:           2
        .value_kind:     hidden_remainder_y
      - .offset:         54
        .size:           2
        .value_kind:     hidden_remainder_z
      - .offset:         72
        .size:           8
        .value_kind:     hidden_global_offset_x
      - .offset:         80
        .size:           8
        .value_kind:     hidden_global_offset_y
      - .offset:         88
        .size:           8
        .value_kind:     hidden_global_offset_z
      - .offset:         96
        .size:           2
        .value_kind:     hidden_grid_dims
    .group_segment_fixed_size: 0
    .kernarg_segment_align: 8
    .kernarg_segment_size: 288
    .language:       OpenCL C
    .language_version:
      - 2
      - 0
    .max_flat_workgroup_size: 1024
    .name:           _Z11fill_kernelI13hipblaslt_bf8Z21hipblaslt_init_deviceIS0_Ev8ABC_dims24hipblaslt_initializationbPT_mmmmmEUlmE6_EvS5_mmT0_
    .private_segment_fixed_size: 0
    .sgpr_count:     16
    .sgpr_spill_count: 0
    .symbol:         _Z11fill_kernelI13hipblaslt_bf8Z21hipblaslt_init_deviceIS0_Ev8ABC_dims24hipblaslt_initializationbPT_mmmmmEUlmE6_EvS5_mmT0_.kd
    .uniform_work_group_size: 1
    .uses_dynamic_stack: false
    .vgpr_count:     3
    .vgpr_spill_count: 0
    .wavefront_size: 32
    .workgroup_processor_mode: 1
  - .args:
      - .address_space:  global
        .offset:         0
        .size:           8
        .value_kind:     global_buffer
      - .offset:         8
        .size:           8
        .value_kind:     by_value
      - .offset:         16
        .size:           8
        .value_kind:     by_value
      - .offset:         24
        .size:           1
        .value_kind:     by_value
      - .offset:         32
        .size:           4
        .value_kind:     hidden_block_count_x
      - .offset:         36
        .size:           4
        .value_kind:     hidden_block_count_y
      - .offset:         40
        .size:           4
        .value_kind:     hidden_block_count_z
      - .offset:         44
        .size:           2
        .value_kind:     hidden_group_size_x
      - .offset:         46
        .size:           2
        .value_kind:     hidden_group_size_y
      - .offset:         48
        .size:           2
        .value_kind:     hidden_group_size_z
      - .offset:         50
        .size:           2
        .value_kind:     hidden_remainder_x
      - .offset:         52
        .size:           2
        .value_kind:     hidden_remainder_y
      - .offset:         54
        .size:           2
        .value_kind:     hidden_remainder_z
      - .offset:         72
        .size:           8
        .value_kind:     hidden_global_offset_x
      - .offset:         80
        .size:           8
        .value_kind:     hidden_global_offset_y
      - .offset:         88
        .size:           8
        .value_kind:     hidden_global_offset_z
      - .offset:         96
        .size:           2
        .value_kind:     hidden_grid_dims
    .group_segment_fixed_size: 0
    .kernarg_segment_align: 8
    .kernarg_segment_size: 288
    .language:       OpenCL C
    .language_version:
      - 2
      - 0
    .max_flat_workgroup_size: 1024
    .name:           _Z11fill_kernelI13hipblaslt_bf8Z21hipblaslt_init_deviceIS0_Ev8ABC_dims24hipblaslt_initializationbPT_mmmmmEUlmE7_EvS5_mmT0_
    .private_segment_fixed_size: 0
    .sgpr_count:     18
    .sgpr_spill_count: 0
    .symbol:         _Z11fill_kernelI13hipblaslt_bf8Z21hipblaslt_init_deviceIS0_Ev8ABC_dims24hipblaslt_initializationbPT_mmmmmEUlmE7_EvS5_mmT0_.kd
    .uniform_work_group_size: 1
    .uses_dynamic_stack: false
    .vgpr_count:     14
    .vgpr_spill_count: 0
    .wavefront_size: 32
    .workgroup_processor_mode: 1
  - .args:
      - .address_space:  global
        .offset:         0
        .size:           8
        .value_kind:     global_buffer
      - .offset:         8
        .size:           8
        .value_kind:     by_value
      - .offset:         16
        .size:           8
        .value_kind:     by_value
      - .offset:         24
        .size:           1
        .value_kind:     by_value
      - .offset:         32
        .size:           4
        .value_kind:     hidden_block_count_x
      - .offset:         36
        .size:           4
        .value_kind:     hidden_block_count_y
      - .offset:         40
        .size:           4
        .value_kind:     hidden_block_count_z
      - .offset:         44
        .size:           2
        .value_kind:     hidden_group_size_x
      - .offset:         46
        .size:           2
        .value_kind:     hidden_group_size_y
      - .offset:         48
        .size:           2
        .value_kind:     hidden_group_size_z
      - .offset:         50
        .size:           2
        .value_kind:     hidden_remainder_x
      - .offset:         52
        .size:           2
        .value_kind:     hidden_remainder_y
      - .offset:         54
        .size:           2
        .value_kind:     hidden_remainder_z
      - .offset:         72
        .size:           8
        .value_kind:     hidden_global_offset_x
      - .offset:         80
        .size:           8
        .value_kind:     hidden_global_offset_y
      - .offset:         88
        .size:           8
        .value_kind:     hidden_global_offset_z
      - .offset:         96
        .size:           2
        .value_kind:     hidden_grid_dims
    .group_segment_fixed_size: 0
    .kernarg_segment_align: 8
    .kernarg_segment_size: 288
    .language:       OpenCL C
    .language_version:
      - 2
      - 0
    .max_flat_workgroup_size: 1024
    .name:           _Z11fill_kernelI13hipblaslt_bf8Z21hipblaslt_init_deviceIS0_Ev8ABC_dims24hipblaslt_initializationbPT_mmmmmEUlmE8_EvS5_mmT0_
    .private_segment_fixed_size: 0
    .sgpr_count:     16
    .sgpr_spill_count: 0
    .symbol:         _Z11fill_kernelI13hipblaslt_bf8Z21hipblaslt_init_deviceIS0_Ev8ABC_dims24hipblaslt_initializationbPT_mmmmmEUlmE8_EvS5_mmT0_.kd
    .uniform_work_group_size: 1
    .uses_dynamic_stack: false
    .vgpr_count:     3
    .vgpr_spill_count: 0
    .wavefront_size: 32
    .workgroup_processor_mode: 1
  - .args:
      - .address_space:  global
        .offset:         0
        .size:           8
        .value_kind:     global_buffer
      - .offset:         8
        .size:           8
        .value_kind:     by_value
      - .offset:         16
        .size:           8
        .value_kind:     by_value
      - .offset:         24
        .size:           4
        .value_kind:     by_value
      - .offset:         32
        .size:           4
        .value_kind:     hidden_block_count_x
      - .offset:         36
        .size:           4
        .value_kind:     hidden_block_count_y
      - .offset:         40
        .size:           4
        .value_kind:     hidden_block_count_z
      - .offset:         44
        .size:           2
        .value_kind:     hidden_group_size_x
      - .offset:         46
        .size:           2
        .value_kind:     hidden_group_size_y
      - .offset:         48
        .size:           2
        .value_kind:     hidden_group_size_z
      - .offset:         50
        .size:           2
        .value_kind:     hidden_remainder_x
      - .offset:         52
        .size:           2
        .value_kind:     hidden_remainder_y
      - .offset:         54
        .size:           2
        .value_kind:     hidden_remainder_z
      - .offset:         72
        .size:           8
        .value_kind:     hidden_global_offset_x
      - .offset:         80
        .size:           8
        .value_kind:     hidden_global_offset_y
      - .offset:         88
        .size:           8
        .value_kind:     hidden_global_offset_z
      - .offset:         96
        .size:           2
        .value_kind:     hidden_grid_dims
    .group_segment_fixed_size: 0
    .kernarg_segment_align: 8
    .kernarg_segment_size: 288
    .language:       OpenCL C
    .language_version:
      - 2
      - 0
    .max_flat_workgroup_size: 1024
    .name:           _Z11fill_kernelI13hipblaslt_bf8Z21hipblaslt_init_deviceIS0_Ev8ABC_dims24hipblaslt_initializationbPT_mmmmmEUlmE9_EvS5_mmT0_
    .private_segment_fixed_size: 0
    .sgpr_count:     18
    .sgpr_spill_count: 0
    .symbol:         _Z11fill_kernelI13hipblaslt_bf8Z21hipblaslt_init_deviceIS0_Ev8ABC_dims24hipblaslt_initializationbPT_mmmmmEUlmE9_EvS5_mmT0_.kd
    .uniform_work_group_size: 1
    .uses_dynamic_stack: false
    .vgpr_count:     17
    .vgpr_spill_count: 0
    .wavefront_size: 32
    .workgroup_processor_mode: 1
  - .args:
      - .address_space:  global
        .offset:         0
        .size:           8
        .value_kind:     global_buffer
      - .offset:         8
        .size:           8
        .value_kind:     by_value
      - .offset:         16
        .size:           8
        .value_kind:     by_value
      - .offset:         24
        .size:           400
        .value_kind:     by_value
      - .offset:         424
        .size:           4
        .value_kind:     hidden_block_count_x
      - .offset:         428
        .size:           4
        .value_kind:     hidden_block_count_y
      - .offset:         432
        .size:           4
        .value_kind:     hidden_block_count_z
      - .offset:         436
        .size:           2
        .value_kind:     hidden_group_size_x
      - .offset:         438
        .size:           2
        .value_kind:     hidden_group_size_y
      - .offset:         440
        .size:           2
        .value_kind:     hidden_group_size_z
      - .offset:         442
        .size:           2
        .value_kind:     hidden_remainder_x
      - .offset:         444
        .size:           2
        .value_kind:     hidden_remainder_y
      - .offset:         446
        .size:           2
        .value_kind:     hidden_remainder_z
      - .offset:         464
        .size:           8
        .value_kind:     hidden_global_offset_x
      - .offset:         472
        .size:           8
        .value_kind:     hidden_global_offset_y
      - .offset:         480
        .size:           8
        .value_kind:     hidden_global_offset_z
      - .offset:         488
        .size:           2
        .value_kind:     hidden_grid_dims
    .group_segment_fixed_size: 0
    .kernarg_segment_align: 8
    .kernarg_segment_size: 680
    .language:       OpenCL C
    .language_version:
      - 2
      - 0
    .max_flat_workgroup_size: 1024
    .name:           _Z11fill_kernelIiZ21hipblaslt_init_deviceIiEv8ABC_dims24hipblaslt_initializationbPT_mmmmmEUlmE_EvS4_mmT0_
    .private_segment_fixed_size: 0
    .sgpr_count:     18
    .sgpr_spill_count: 0
    .symbol:         _Z11fill_kernelIiZ21hipblaslt_init_deviceIiEv8ABC_dims24hipblaslt_initializationbPT_mmmmmEUlmE_EvS4_mmT0_.kd
    .uniform_work_group_size: 1
    .uses_dynamic_stack: false
    .vgpr_count:     6
    .vgpr_spill_count: 0
    .wavefront_size: 32
    .workgroup_processor_mode: 1
  - .args:
      - .address_space:  global
        .offset:         0
        .size:           8
        .value_kind:     global_buffer
      - .offset:         8
        .size:           8
        .value_kind:     by_value
      - .offset:         16
        .size:           8
        .value_kind:     by_value
      - .offset:         24
        .size:           1
        .value_kind:     by_value
      - .offset:         32
        .size:           4
        .value_kind:     hidden_block_count_x
      - .offset:         36
        .size:           4
        .value_kind:     hidden_block_count_y
      - .offset:         40
        .size:           4
        .value_kind:     hidden_block_count_z
      - .offset:         44
        .size:           2
        .value_kind:     hidden_group_size_x
      - .offset:         46
        .size:           2
        .value_kind:     hidden_group_size_y
      - .offset:         48
        .size:           2
        .value_kind:     hidden_group_size_z
      - .offset:         50
        .size:           2
        .value_kind:     hidden_remainder_x
      - .offset:         52
        .size:           2
        .value_kind:     hidden_remainder_y
      - .offset:         54
        .size:           2
        .value_kind:     hidden_remainder_z
      - .offset:         72
        .size:           8
        .value_kind:     hidden_global_offset_x
      - .offset:         80
        .size:           8
        .value_kind:     hidden_global_offset_y
      - .offset:         88
        .size:           8
        .value_kind:     hidden_global_offset_z
      - .offset:         96
        .size:           2
        .value_kind:     hidden_grid_dims
    .group_segment_fixed_size: 0
    .kernarg_segment_align: 8
    .kernarg_segment_size: 288
    .language:       OpenCL C
    .language_version:
      - 2
      - 0
    .max_flat_workgroup_size: 1024
    .name:           _Z11fill_kernelIiZ21hipblaslt_init_deviceIiEv8ABC_dims24hipblaslt_initializationbPT_mmmmmEUlmE0_EvS4_mmT0_
    .private_segment_fixed_size: 0
    .sgpr_count:     18
    .sgpr_spill_count: 0
    .symbol:         _Z11fill_kernelIiZ21hipblaslt_init_deviceIiEv8ABC_dims24hipblaslt_initializationbPT_mmmmmEUlmE0_EvS4_mmT0_.kd
    .uniform_work_group_size: 1
    .uses_dynamic_stack: false
    .vgpr_count:     6
    .vgpr_spill_count: 0
    .wavefront_size: 32
    .workgroup_processor_mode: 1
  - .args:
      - .address_space:  global
        .offset:         0
        .size:           8
        .value_kind:     global_buffer
      - .offset:         8
        .size:           8
        .value_kind:     by_value
      - .offset:         16
        .size:           8
        .value_kind:     by_value
      - .offset:         24
        .size:           16
        .value_kind:     by_value
      - .offset:         40
        .size:           4
        .value_kind:     hidden_block_count_x
      - .offset:         44
        .size:           4
        .value_kind:     hidden_block_count_y
      - .offset:         48
        .size:           4
        .value_kind:     hidden_block_count_z
      - .offset:         52
        .size:           2
        .value_kind:     hidden_group_size_x
      - .offset:         54
        .size:           2
        .value_kind:     hidden_group_size_y
      - .offset:         56
        .size:           2
        .value_kind:     hidden_group_size_z
      - .offset:         58
        .size:           2
        .value_kind:     hidden_remainder_x
      - .offset:         60
        .size:           2
        .value_kind:     hidden_remainder_y
      - .offset:         62
        .size:           2
        .value_kind:     hidden_remainder_z
      - .offset:         80
        .size:           8
        .value_kind:     hidden_global_offset_x
      - .offset:         88
        .size:           8
        .value_kind:     hidden_global_offset_y
      - .offset:         96
        .size:           8
        .value_kind:     hidden_global_offset_z
      - .offset:         104
        .size:           2
        .value_kind:     hidden_grid_dims
    .group_segment_fixed_size: 0
    .kernarg_segment_align: 8
    .kernarg_segment_size: 296
    .language:       OpenCL C
    .language_version:
      - 2
      - 0
    .max_flat_workgroup_size: 1024
    .name:           _Z11fill_kernelIiZ21hipblaslt_init_deviceIiEv8ABC_dims24hipblaslt_initializationbPT_mmmmmEUlmE1_EvS4_mmT0_
    .private_segment_fixed_size: 0
    .sgpr_count:     18
    .sgpr_spill_count: 0
    .symbol:         _Z11fill_kernelIiZ21hipblaslt_init_deviceIiEv8ABC_dims24hipblaslt_initializationbPT_mmmmmEUlmE1_EvS4_mmT0_.kd
    .uniform_work_group_size: 1
    .uses_dynamic_stack: false
    .vgpr_count:     13
    .vgpr_spill_count: 0
    .wavefront_size: 32
    .workgroup_processor_mode: 1
  - .args:
      - .address_space:  global
        .offset:         0
        .size:           8
        .value_kind:     global_buffer
      - .offset:         8
        .size:           8
        .value_kind:     by_value
      - .offset:         16
        .size:           8
        .value_kind:     by_value
      - .offset:         24
        .size:           32
        .value_kind:     by_value
      - .offset:         56
        .size:           4
        .value_kind:     hidden_block_count_x
      - .offset:         60
        .size:           4
        .value_kind:     hidden_block_count_y
      - .offset:         64
        .size:           4
        .value_kind:     hidden_block_count_z
      - .offset:         68
        .size:           2
        .value_kind:     hidden_group_size_x
      - .offset:         70
        .size:           2
        .value_kind:     hidden_group_size_y
      - .offset:         72
        .size:           2
        .value_kind:     hidden_group_size_z
      - .offset:         74
        .size:           2
        .value_kind:     hidden_remainder_x
      - .offset:         76
        .size:           2
        .value_kind:     hidden_remainder_y
      - .offset:         78
        .size:           2
        .value_kind:     hidden_remainder_z
      - .offset:         96
        .size:           8
        .value_kind:     hidden_global_offset_x
      - .offset:         104
        .size:           8
        .value_kind:     hidden_global_offset_y
      - .offset:         112
        .size:           8
        .value_kind:     hidden_global_offset_z
      - .offset:         120
        .size:           2
        .value_kind:     hidden_grid_dims
    .group_segment_fixed_size: 0
    .kernarg_segment_align: 8
    .kernarg_segment_size: 312
    .language:       OpenCL C
    .language_version:
      - 2
      - 0
    .max_flat_workgroup_size: 1024
    .name:           _Z11fill_kernelIiZ21hipblaslt_init_deviceIiEv8ABC_dims24hipblaslt_initializationbPT_mmmmmEUlmE2_EvS4_mmT0_
    .private_segment_fixed_size: 0
    .sgpr_count:     22
    .sgpr_spill_count: 0
    .symbol:         _Z11fill_kernelIiZ21hipblaslt_init_deviceIiEv8ABC_dims24hipblaslt_initializationbPT_mmmmmEUlmE2_EvS4_mmT0_.kd
    .uniform_work_group_size: 1
    .uses_dynamic_stack: false
    .vgpr_count:     33
    .vgpr_spill_count: 0
    .wavefront_size: 32
    .workgroup_processor_mode: 1
  - .args:
      - .address_space:  global
        .offset:         0
        .size:           8
        .value_kind:     global_buffer
      - .offset:         8
        .size:           8
        .value_kind:     by_value
      - .offset:         16
        .size:           8
        .value_kind:     by_value
      - .offset:         24
        .size:           32
        .value_kind:     by_value
      - .offset:         56
        .size:           4
        .value_kind:     hidden_block_count_x
      - .offset:         60
        .size:           4
        .value_kind:     hidden_block_count_y
      - .offset:         64
        .size:           4
        .value_kind:     hidden_block_count_z
      - .offset:         68
        .size:           2
        .value_kind:     hidden_group_size_x
      - .offset:         70
        .size:           2
        .value_kind:     hidden_group_size_y
      - .offset:         72
        .size:           2
        .value_kind:     hidden_group_size_z
      - .offset:         74
        .size:           2
        .value_kind:     hidden_remainder_x
      - .offset:         76
        .size:           2
        .value_kind:     hidden_remainder_y
      - .offset:         78
        .size:           2
        .value_kind:     hidden_remainder_z
      - .offset:         96
        .size:           8
        .value_kind:     hidden_global_offset_x
      - .offset:         104
        .size:           8
        .value_kind:     hidden_global_offset_y
      - .offset:         112
        .size:           8
        .value_kind:     hidden_global_offset_z
      - .offset:         120
        .size:           2
        .value_kind:     hidden_grid_dims
    .group_segment_fixed_size: 0
    .kernarg_segment_align: 8
    .kernarg_segment_size: 312
    .language:       OpenCL C
    .language_version:
      - 2
      - 0
    .max_flat_workgroup_size: 1024
    .name:           _Z11fill_kernelIiZ21hipblaslt_init_deviceIiEv8ABC_dims24hipblaslt_initializationbPT_mmmmmEUlmE3_EvS4_mmT0_
    .private_segment_fixed_size: 0
    .sgpr_count:     22
    .sgpr_spill_count: 0
    .symbol:         _Z11fill_kernelIiZ21hipblaslt_init_deviceIiEv8ABC_dims24hipblaslt_initializationbPT_mmmmmEUlmE3_EvS4_mmT0_.kd
    .uniform_work_group_size: 1
    .uses_dynamic_stack: false
    .vgpr_count:     33
    .vgpr_spill_count: 0
    .wavefront_size: 32
    .workgroup_processor_mode: 1
  - .args:
      - .address_space:  global
        .offset:         0
        .size:           8
        .value_kind:     global_buffer
      - .offset:         8
        .size:           8
        .value_kind:     by_value
      - .offset:         16
        .size:           8
        .value_kind:     by_value
      - .offset:         24
        .size:           1
        .value_kind:     by_value
      - .offset:         32
        .size:           4
        .value_kind:     hidden_block_count_x
      - .offset:         36
        .size:           4
        .value_kind:     hidden_block_count_y
      - .offset:         40
        .size:           4
        .value_kind:     hidden_block_count_z
      - .offset:         44
        .size:           2
        .value_kind:     hidden_group_size_x
      - .offset:         46
        .size:           2
        .value_kind:     hidden_group_size_y
      - .offset:         48
        .size:           2
        .value_kind:     hidden_group_size_z
      - .offset:         50
        .size:           2
        .value_kind:     hidden_remainder_x
      - .offset:         52
        .size:           2
        .value_kind:     hidden_remainder_y
      - .offset:         54
        .size:           2
        .value_kind:     hidden_remainder_z
      - .offset:         72
        .size:           8
        .value_kind:     hidden_global_offset_x
      - .offset:         80
        .size:           8
        .value_kind:     hidden_global_offset_y
      - .offset:         88
        .size:           8
        .value_kind:     hidden_global_offset_z
      - .offset:         96
        .size:           2
        .value_kind:     hidden_grid_dims
    .group_segment_fixed_size: 0
    .kernarg_segment_align: 8
    .kernarg_segment_size: 288
    .language:       OpenCL C
    .language_version:
      - 2
      - 0
    .max_flat_workgroup_size: 1024
    .name:           _Z11fill_kernelIiZ21hipblaslt_init_deviceIiEv8ABC_dims24hipblaslt_initializationbPT_mmmmmEUlmE4_EvS4_mmT0_
    .private_segment_fixed_size: 0
    .sgpr_count:     18
    .sgpr_spill_count: 0
    .symbol:         _Z11fill_kernelIiZ21hipblaslt_init_deviceIiEv8ABC_dims24hipblaslt_initializationbPT_mmmmmEUlmE4_EvS4_mmT0_.kd
    .uniform_work_group_size: 1
    .uses_dynamic_stack: false
    .vgpr_count:     12
    .vgpr_spill_count: 0
    .wavefront_size: 32
    .workgroup_processor_mode: 1
  - .args:
      - .address_space:  global
        .offset:         0
        .size:           8
        .value_kind:     global_buffer
      - .offset:         8
        .size:           8
        .value_kind:     by_value
      - .offset:         16
        .size:           8
        .value_kind:     by_value
      - .offset:         24
        .size:           1
        .value_kind:     by_value
      - .offset:         32
        .size:           4
        .value_kind:     hidden_block_count_x
      - .offset:         36
        .size:           4
        .value_kind:     hidden_block_count_y
      - .offset:         40
        .size:           4
        .value_kind:     hidden_block_count_z
      - .offset:         44
        .size:           2
        .value_kind:     hidden_group_size_x
      - .offset:         46
        .size:           2
        .value_kind:     hidden_group_size_y
      - .offset:         48
        .size:           2
        .value_kind:     hidden_group_size_z
      - .offset:         50
        .size:           2
        .value_kind:     hidden_remainder_x
      - .offset:         52
        .size:           2
        .value_kind:     hidden_remainder_y
      - .offset:         54
        .size:           2
        .value_kind:     hidden_remainder_z
      - .offset:         72
        .size:           8
        .value_kind:     hidden_global_offset_x
      - .offset:         80
        .size:           8
        .value_kind:     hidden_global_offset_y
      - .offset:         88
        .size:           8
        .value_kind:     hidden_global_offset_z
      - .offset:         96
        .size:           2
        .value_kind:     hidden_grid_dims
    .group_segment_fixed_size: 0
    .kernarg_segment_align: 8
    .kernarg_segment_size: 288
    .language:       OpenCL C
    .language_version:
      - 2
      - 0
    .max_flat_workgroup_size: 1024
    .name:           _Z11fill_kernelIiZ21hipblaslt_init_deviceIiEv8ABC_dims24hipblaslt_initializationbPT_mmmmmEUlmE5_EvS4_mmT0_
    .private_segment_fixed_size: 0
    .sgpr_count:     18
    .sgpr_spill_count: 0
    .symbol:         _Z11fill_kernelIiZ21hipblaslt_init_deviceIiEv8ABC_dims24hipblaslt_initializationbPT_mmmmmEUlmE5_EvS4_mmT0_.kd
    .uniform_work_group_size: 1
    .uses_dynamic_stack: false
    .vgpr_count:     3
    .vgpr_spill_count: 0
    .wavefront_size: 32
    .workgroup_processor_mode: 1
  - .args:
      - .address_space:  global
        .offset:         0
        .size:           8
        .value_kind:     global_buffer
      - .offset:         8
        .size:           8
        .value_kind:     by_value
      - .offset:         16
        .size:           8
        .value_kind:     by_value
      - .offset:         24
        .size:           1
        .value_kind:     by_value
      - .offset:         32
        .size:           4
        .value_kind:     hidden_block_count_x
      - .offset:         36
        .size:           4
        .value_kind:     hidden_block_count_y
      - .offset:         40
        .size:           4
        .value_kind:     hidden_block_count_z
      - .offset:         44
        .size:           2
        .value_kind:     hidden_group_size_x
      - .offset:         46
        .size:           2
        .value_kind:     hidden_group_size_y
      - .offset:         48
        .size:           2
        .value_kind:     hidden_group_size_z
      - .offset:         50
        .size:           2
        .value_kind:     hidden_remainder_x
      - .offset:         52
        .size:           2
        .value_kind:     hidden_remainder_y
      - .offset:         54
        .size:           2
        .value_kind:     hidden_remainder_z
      - .offset:         72
        .size:           8
        .value_kind:     hidden_global_offset_x
      - .offset:         80
        .size:           8
        .value_kind:     hidden_global_offset_y
      - .offset:         88
        .size:           8
        .value_kind:     hidden_global_offset_z
      - .offset:         96
        .size:           2
        .value_kind:     hidden_grid_dims
    .group_segment_fixed_size: 0
    .kernarg_segment_align: 8
    .kernarg_segment_size: 288
    .language:       OpenCL C
    .language_version:
      - 2
      - 0
    .max_flat_workgroup_size: 1024
    .name:           _Z11fill_kernelIiZ21hipblaslt_init_deviceIiEv8ABC_dims24hipblaslt_initializationbPT_mmmmmEUlmE6_EvS4_mmT0_
    .private_segment_fixed_size: 0
    .sgpr_count:     18
    .sgpr_spill_count: 0
    .symbol:         _Z11fill_kernelIiZ21hipblaslt_init_deviceIiEv8ABC_dims24hipblaslt_initializationbPT_mmmmmEUlmE6_EvS4_mmT0_.kd
    .uniform_work_group_size: 1
    .uses_dynamic_stack: false
    .vgpr_count:     3
    .vgpr_spill_count: 0
    .wavefront_size: 32
    .workgroup_processor_mode: 1
  - .args:
      - .address_space:  global
        .offset:         0
        .size:           8
        .value_kind:     global_buffer
      - .offset:         8
        .size:           8
        .value_kind:     by_value
      - .offset:         16
        .size:           8
        .value_kind:     by_value
      - .offset:         24
        .size:           1
        .value_kind:     by_value
      - .offset:         32
        .size:           4
        .value_kind:     hidden_block_count_x
      - .offset:         36
        .size:           4
        .value_kind:     hidden_block_count_y
      - .offset:         40
        .size:           4
        .value_kind:     hidden_block_count_z
      - .offset:         44
        .size:           2
        .value_kind:     hidden_group_size_x
      - .offset:         46
        .size:           2
        .value_kind:     hidden_group_size_y
      - .offset:         48
        .size:           2
        .value_kind:     hidden_group_size_z
      - .offset:         50
        .size:           2
        .value_kind:     hidden_remainder_x
      - .offset:         52
        .size:           2
        .value_kind:     hidden_remainder_y
      - .offset:         54
        .size:           2
        .value_kind:     hidden_remainder_z
      - .offset:         72
        .size:           8
        .value_kind:     hidden_global_offset_x
      - .offset:         80
        .size:           8
        .value_kind:     hidden_global_offset_y
      - .offset:         88
        .size:           8
        .value_kind:     hidden_global_offset_z
      - .offset:         96
        .size:           2
        .value_kind:     hidden_grid_dims
    .group_segment_fixed_size: 0
    .kernarg_segment_align: 8
    .kernarg_segment_size: 288
    .language:       OpenCL C
    .language_version:
      - 2
      - 0
    .max_flat_workgroup_size: 1024
    .name:           _Z11fill_kernelIiZ21hipblaslt_init_deviceIiEv8ABC_dims24hipblaslt_initializationbPT_mmmmmEUlmE7_EvS4_mmT0_
    .private_segment_fixed_size: 0
    .sgpr_count:     18
    .sgpr_spill_count: 0
    .symbol:         _Z11fill_kernelIiZ21hipblaslt_init_deviceIiEv8ABC_dims24hipblaslt_initializationbPT_mmmmmEUlmE7_EvS4_mmT0_.kd
    .uniform_work_group_size: 1
    .uses_dynamic_stack: false
    .vgpr_count:     6
    .vgpr_spill_count: 0
    .wavefront_size: 32
    .workgroup_processor_mode: 1
  - .args:
      - .address_space:  global
        .offset:         0
        .size:           8
        .value_kind:     global_buffer
      - .offset:         8
        .size:           8
        .value_kind:     by_value
      - .offset:         16
        .size:           8
        .value_kind:     by_value
      - .offset:         24
        .size:           1
        .value_kind:     by_value
      - .offset:         32
        .size:           4
        .value_kind:     hidden_block_count_x
      - .offset:         36
        .size:           4
        .value_kind:     hidden_block_count_y
      - .offset:         40
        .size:           4
        .value_kind:     hidden_block_count_z
      - .offset:         44
        .size:           2
        .value_kind:     hidden_group_size_x
      - .offset:         46
        .size:           2
        .value_kind:     hidden_group_size_y
      - .offset:         48
        .size:           2
        .value_kind:     hidden_group_size_z
      - .offset:         50
        .size:           2
        .value_kind:     hidden_remainder_x
      - .offset:         52
        .size:           2
        .value_kind:     hidden_remainder_y
      - .offset:         54
        .size:           2
        .value_kind:     hidden_remainder_z
      - .offset:         72
        .size:           8
        .value_kind:     hidden_global_offset_x
      - .offset:         80
        .size:           8
        .value_kind:     hidden_global_offset_y
      - .offset:         88
        .size:           8
        .value_kind:     hidden_global_offset_z
      - .offset:         96
        .size:           2
        .value_kind:     hidden_grid_dims
    .group_segment_fixed_size: 0
    .kernarg_segment_align: 8
    .kernarg_segment_size: 288
    .language:       OpenCL C
    .language_version:
      - 2
      - 0
    .max_flat_workgroup_size: 1024
    .name:           _Z11fill_kernelIiZ21hipblaslt_init_deviceIiEv8ABC_dims24hipblaslt_initializationbPT_mmmmmEUlmE8_EvS4_mmT0_
    .private_segment_fixed_size: 0
    .sgpr_count:     18
    .sgpr_spill_count: 0
    .symbol:         _Z11fill_kernelIiZ21hipblaslt_init_deviceIiEv8ABC_dims24hipblaslt_initializationbPT_mmmmmEUlmE8_EvS4_mmT0_.kd
    .uniform_work_group_size: 1
    .uses_dynamic_stack: false
    .vgpr_count:     3
    .vgpr_spill_count: 0
    .wavefront_size: 32
    .workgroup_processor_mode: 1
  - .args:
      - .address_space:  global
        .offset:         0
        .size:           8
        .value_kind:     global_buffer
      - .offset:         8
        .size:           8
        .value_kind:     by_value
      - .offset:         16
        .size:           8
        .value_kind:     by_value
      - .offset:         24
        .size:           4
        .value_kind:     by_value
      - .offset:         32
        .size:           4
        .value_kind:     hidden_block_count_x
      - .offset:         36
        .size:           4
        .value_kind:     hidden_block_count_y
      - .offset:         40
        .size:           4
        .value_kind:     hidden_block_count_z
      - .offset:         44
        .size:           2
        .value_kind:     hidden_group_size_x
      - .offset:         46
        .size:           2
        .value_kind:     hidden_group_size_y
      - .offset:         48
        .size:           2
        .value_kind:     hidden_group_size_z
      - .offset:         50
        .size:           2
        .value_kind:     hidden_remainder_x
      - .offset:         52
        .size:           2
        .value_kind:     hidden_remainder_y
      - .offset:         54
        .size:           2
        .value_kind:     hidden_remainder_z
      - .offset:         72
        .size:           8
        .value_kind:     hidden_global_offset_x
      - .offset:         80
        .size:           8
        .value_kind:     hidden_global_offset_y
      - .offset:         88
        .size:           8
        .value_kind:     hidden_global_offset_z
      - .offset:         96
        .size:           2
        .value_kind:     hidden_grid_dims
    .group_segment_fixed_size: 0
    .kernarg_segment_align: 8
    .kernarg_segment_size: 288
    .language:       OpenCL C
    .language_version:
      - 2
      - 0
    .max_flat_workgroup_size: 1024
    .name:           _Z11fill_kernelIiZ21hipblaslt_init_deviceIiEv8ABC_dims24hipblaslt_initializationbPT_mmmmmEUlmE9_EvS4_mmT0_
    .private_segment_fixed_size: 0
    .sgpr_count:     18
    .sgpr_spill_count: 0
    .symbol:         _Z11fill_kernelIiZ21hipblaslt_init_deviceIiEv8ABC_dims24hipblaslt_initializationbPT_mmmmmEUlmE9_EvS4_mmT0_.kd
    .uniform_work_group_size: 1
    .uses_dynamic_stack: false
    .vgpr_count:     17
    .vgpr_spill_count: 0
    .wavefront_size: 32
    .workgroup_processor_mode: 1
  - .args:
      - .address_space:  global
        .offset:         0
        .size:           8
        .value_kind:     global_buffer
      - .offset:         8
        .size:           8
        .value_kind:     by_value
      - .offset:         16
        .size:           8
        .value_kind:     by_value
      - .offset:         24
        .size:           100
        .value_kind:     by_value
      - .offset:         128
        .size:           4
        .value_kind:     hidden_block_count_x
      - .offset:         132
        .size:           4
        .value_kind:     hidden_block_count_y
      - .offset:         136
        .size:           4
        .value_kind:     hidden_block_count_z
      - .offset:         140
        .size:           2
        .value_kind:     hidden_group_size_x
      - .offset:         142
        .size:           2
        .value_kind:     hidden_group_size_y
      - .offset:         144
        .size:           2
        .value_kind:     hidden_group_size_z
      - .offset:         146
        .size:           2
        .value_kind:     hidden_remainder_x
      - .offset:         148
        .size:           2
        .value_kind:     hidden_remainder_y
      - .offset:         150
        .size:           2
        .value_kind:     hidden_remainder_z
      - .offset:         168
        .size:           8
        .value_kind:     hidden_global_offset_x
      - .offset:         176
        .size:           8
        .value_kind:     hidden_global_offset_y
      - .offset:         184
        .size:           8
        .value_kind:     hidden_global_offset_z
      - .offset:         192
        .size:           2
        .value_kind:     hidden_grid_dims
    .group_segment_fixed_size: 0
    .kernarg_segment_align: 8
    .kernarg_segment_size: 384
    .language:       OpenCL C
    .language_version:
      - 2
      - 0
    .max_flat_workgroup_size: 1024
    .name:           _Z11fill_kernelIaZ21hipblaslt_init_deviceIaEv8ABC_dims24hipblaslt_initializationbPT_mmmmmEUlmE_EvS4_mmT0_
    .private_segment_fixed_size: 0
    .sgpr_count:     18
    .sgpr_spill_count: 0
    .symbol:         _Z11fill_kernelIaZ21hipblaslt_init_deviceIaEv8ABC_dims24hipblaslt_initializationbPT_mmmmmEUlmE_EvS4_mmT0_.kd
    .uniform_work_group_size: 1
    .uses_dynamic_stack: false
    .vgpr_count:     6
    .vgpr_spill_count: 0
    .wavefront_size: 32
    .workgroup_processor_mode: 1
  - .args:
      - .address_space:  global
        .offset:         0
        .size:           8
        .value_kind:     global_buffer
      - .offset:         8
        .size:           8
        .value_kind:     by_value
      - .offset:         16
        .size:           8
        .value_kind:     by_value
      - .offset:         24
        .size:           1
        .value_kind:     by_value
      - .offset:         32
        .size:           4
        .value_kind:     hidden_block_count_x
      - .offset:         36
        .size:           4
        .value_kind:     hidden_block_count_y
      - .offset:         40
        .size:           4
        .value_kind:     hidden_block_count_z
      - .offset:         44
        .size:           2
        .value_kind:     hidden_group_size_x
      - .offset:         46
        .size:           2
        .value_kind:     hidden_group_size_y
      - .offset:         48
        .size:           2
        .value_kind:     hidden_group_size_z
      - .offset:         50
        .size:           2
        .value_kind:     hidden_remainder_x
      - .offset:         52
        .size:           2
        .value_kind:     hidden_remainder_y
      - .offset:         54
        .size:           2
        .value_kind:     hidden_remainder_z
      - .offset:         72
        .size:           8
        .value_kind:     hidden_global_offset_x
      - .offset:         80
        .size:           8
        .value_kind:     hidden_global_offset_y
      - .offset:         88
        .size:           8
        .value_kind:     hidden_global_offset_z
      - .offset:         96
        .size:           2
        .value_kind:     hidden_grid_dims
    .group_segment_fixed_size: 0
    .kernarg_segment_align: 8
    .kernarg_segment_size: 288
    .language:       OpenCL C
    .language_version:
      - 2
      - 0
    .max_flat_workgroup_size: 1024
    .name:           _Z11fill_kernelIaZ21hipblaslt_init_deviceIaEv8ABC_dims24hipblaslt_initializationbPT_mmmmmEUlmE0_EvS4_mmT0_
    .private_segment_fixed_size: 0
    .sgpr_count:     18
    .sgpr_spill_count: 0
    .symbol:         _Z11fill_kernelIaZ21hipblaslt_init_deviceIaEv8ABC_dims24hipblaslt_initializationbPT_mmmmmEUlmE0_EvS4_mmT0_.kd
    .uniform_work_group_size: 1
    .uses_dynamic_stack: false
    .vgpr_count:     6
    .vgpr_spill_count: 0
    .wavefront_size: 32
    .workgroup_processor_mode: 1
  - .args:
      - .address_space:  global
        .offset:         0
        .size:           8
        .value_kind:     global_buffer
      - .offset:         8
        .size:           8
        .value_kind:     by_value
      - .offset:         16
        .size:           8
        .value_kind:     by_value
      - .offset:         24
        .size:           16
        .value_kind:     by_value
      - .offset:         40
        .size:           4
        .value_kind:     hidden_block_count_x
      - .offset:         44
        .size:           4
        .value_kind:     hidden_block_count_y
      - .offset:         48
        .size:           4
        .value_kind:     hidden_block_count_z
      - .offset:         52
        .size:           2
        .value_kind:     hidden_group_size_x
      - .offset:         54
        .size:           2
        .value_kind:     hidden_group_size_y
      - .offset:         56
        .size:           2
        .value_kind:     hidden_group_size_z
      - .offset:         58
        .size:           2
        .value_kind:     hidden_remainder_x
      - .offset:         60
        .size:           2
        .value_kind:     hidden_remainder_y
      - .offset:         62
        .size:           2
        .value_kind:     hidden_remainder_z
      - .offset:         80
        .size:           8
        .value_kind:     hidden_global_offset_x
      - .offset:         88
        .size:           8
        .value_kind:     hidden_global_offset_y
      - .offset:         96
        .size:           8
        .value_kind:     hidden_global_offset_z
      - .offset:         104
        .size:           2
        .value_kind:     hidden_grid_dims
    .group_segment_fixed_size: 0
    .kernarg_segment_align: 8
    .kernarg_segment_size: 296
    .language:       OpenCL C
    .language_version:
      - 2
      - 0
    .max_flat_workgroup_size: 1024
    .name:           _Z11fill_kernelIaZ21hipblaslt_init_deviceIaEv8ABC_dims24hipblaslt_initializationbPT_mmmmmEUlmE1_EvS4_mmT0_
    .private_segment_fixed_size: 0
    .sgpr_count:     18
    .sgpr_spill_count: 0
    .symbol:         _Z11fill_kernelIaZ21hipblaslt_init_deviceIaEv8ABC_dims24hipblaslt_initializationbPT_mmmmmEUlmE1_EvS4_mmT0_.kd
    .uniform_work_group_size: 1
    .uses_dynamic_stack: false
    .vgpr_count:     13
    .vgpr_spill_count: 0
    .wavefront_size: 32
    .workgroup_processor_mode: 1
  - .args:
      - .address_space:  global
        .offset:         0
        .size:           8
        .value_kind:     global_buffer
      - .offset:         8
        .size:           8
        .value_kind:     by_value
      - .offset:         16
        .size:           8
        .value_kind:     by_value
      - .offset:         24
        .size:           32
        .value_kind:     by_value
      - .offset:         56
        .size:           4
        .value_kind:     hidden_block_count_x
      - .offset:         60
        .size:           4
        .value_kind:     hidden_block_count_y
      - .offset:         64
        .size:           4
        .value_kind:     hidden_block_count_z
      - .offset:         68
        .size:           2
        .value_kind:     hidden_group_size_x
      - .offset:         70
        .size:           2
        .value_kind:     hidden_group_size_y
      - .offset:         72
        .size:           2
        .value_kind:     hidden_group_size_z
      - .offset:         74
        .size:           2
        .value_kind:     hidden_remainder_x
      - .offset:         76
        .size:           2
        .value_kind:     hidden_remainder_y
      - .offset:         78
        .size:           2
        .value_kind:     hidden_remainder_z
      - .offset:         96
        .size:           8
        .value_kind:     hidden_global_offset_x
      - .offset:         104
        .size:           8
        .value_kind:     hidden_global_offset_y
      - .offset:         112
        .size:           8
        .value_kind:     hidden_global_offset_z
      - .offset:         120
        .size:           2
        .value_kind:     hidden_grid_dims
    .group_segment_fixed_size: 0
    .kernarg_segment_align: 8
    .kernarg_segment_size: 312
    .language:       OpenCL C
    .language_version:
      - 2
      - 0
    .max_flat_workgroup_size: 1024
    .name:           _Z11fill_kernelIaZ21hipblaslt_init_deviceIaEv8ABC_dims24hipblaslt_initializationbPT_mmmmmEUlmE2_EvS4_mmT0_
    .private_segment_fixed_size: 0
    .sgpr_count:     22
    .sgpr_spill_count: 0
    .symbol:         _Z11fill_kernelIaZ21hipblaslt_init_deviceIaEv8ABC_dims24hipblaslt_initializationbPT_mmmmmEUlmE2_EvS4_mmT0_.kd
    .uniform_work_group_size: 1
    .uses_dynamic_stack: false
    .vgpr_count:     33
    .vgpr_spill_count: 0
    .wavefront_size: 32
    .workgroup_processor_mode: 1
  - .args:
      - .address_space:  global
        .offset:         0
        .size:           8
        .value_kind:     global_buffer
      - .offset:         8
        .size:           8
        .value_kind:     by_value
      - .offset:         16
        .size:           8
        .value_kind:     by_value
      - .offset:         24
        .size:           32
        .value_kind:     by_value
      - .offset:         56
        .size:           4
        .value_kind:     hidden_block_count_x
      - .offset:         60
        .size:           4
        .value_kind:     hidden_block_count_y
      - .offset:         64
        .size:           4
        .value_kind:     hidden_block_count_z
      - .offset:         68
        .size:           2
        .value_kind:     hidden_group_size_x
      - .offset:         70
        .size:           2
        .value_kind:     hidden_group_size_y
      - .offset:         72
        .size:           2
        .value_kind:     hidden_group_size_z
      - .offset:         74
        .size:           2
        .value_kind:     hidden_remainder_x
      - .offset:         76
        .size:           2
        .value_kind:     hidden_remainder_y
      - .offset:         78
        .size:           2
        .value_kind:     hidden_remainder_z
      - .offset:         96
        .size:           8
        .value_kind:     hidden_global_offset_x
      - .offset:         104
        .size:           8
        .value_kind:     hidden_global_offset_y
      - .offset:         112
        .size:           8
        .value_kind:     hidden_global_offset_z
      - .offset:         120
        .size:           2
        .value_kind:     hidden_grid_dims
    .group_segment_fixed_size: 0
    .kernarg_segment_align: 8
    .kernarg_segment_size: 312
    .language:       OpenCL C
    .language_version:
      - 2
      - 0
    .max_flat_workgroup_size: 1024
    .name:           _Z11fill_kernelIaZ21hipblaslt_init_deviceIaEv8ABC_dims24hipblaslt_initializationbPT_mmmmmEUlmE3_EvS4_mmT0_
    .private_segment_fixed_size: 0
    .sgpr_count:     22
    .sgpr_spill_count: 0
    .symbol:         _Z11fill_kernelIaZ21hipblaslt_init_deviceIaEv8ABC_dims24hipblaslt_initializationbPT_mmmmmEUlmE3_EvS4_mmT0_.kd
    .uniform_work_group_size: 1
    .uses_dynamic_stack: false
    .vgpr_count:     33
    .vgpr_spill_count: 0
    .wavefront_size: 32
    .workgroup_processor_mode: 1
  - .args:
      - .address_space:  global
        .offset:         0
        .size:           8
        .value_kind:     global_buffer
      - .offset:         8
        .size:           8
        .value_kind:     by_value
      - .offset:         16
        .size:           8
        .value_kind:     by_value
      - .offset:         24
        .size:           1
        .value_kind:     by_value
      - .offset:         32
        .size:           4
        .value_kind:     hidden_block_count_x
      - .offset:         36
        .size:           4
        .value_kind:     hidden_block_count_y
      - .offset:         40
        .size:           4
        .value_kind:     hidden_block_count_z
      - .offset:         44
        .size:           2
        .value_kind:     hidden_group_size_x
      - .offset:         46
        .size:           2
        .value_kind:     hidden_group_size_y
      - .offset:         48
        .size:           2
        .value_kind:     hidden_group_size_z
      - .offset:         50
        .size:           2
        .value_kind:     hidden_remainder_x
      - .offset:         52
        .size:           2
        .value_kind:     hidden_remainder_y
      - .offset:         54
        .size:           2
        .value_kind:     hidden_remainder_z
      - .offset:         72
        .size:           8
        .value_kind:     hidden_global_offset_x
      - .offset:         80
        .size:           8
        .value_kind:     hidden_global_offset_y
      - .offset:         88
        .size:           8
        .value_kind:     hidden_global_offset_z
      - .offset:         96
        .size:           2
        .value_kind:     hidden_grid_dims
    .group_segment_fixed_size: 0
    .kernarg_segment_align: 8
    .kernarg_segment_size: 288
    .language:       OpenCL C
    .language_version:
      - 2
      - 0
    .max_flat_workgroup_size: 1024
    .name:           _Z11fill_kernelIaZ21hipblaslt_init_deviceIaEv8ABC_dims24hipblaslt_initializationbPT_mmmmmEUlmE4_EvS4_mmT0_
    .private_segment_fixed_size: 0
    .sgpr_count:     18
    .sgpr_spill_count: 0
    .symbol:         _Z11fill_kernelIaZ21hipblaslt_init_deviceIaEv8ABC_dims24hipblaslt_initializationbPT_mmmmmEUlmE4_EvS4_mmT0_.kd
    .uniform_work_group_size: 1
    .uses_dynamic_stack: false
    .vgpr_count:     12
    .vgpr_spill_count: 0
    .wavefront_size: 32
    .workgroup_processor_mode: 1
  - .args:
      - .address_space:  global
        .offset:         0
        .size:           8
        .value_kind:     global_buffer
      - .offset:         8
        .size:           8
        .value_kind:     by_value
      - .offset:         16
        .size:           8
        .value_kind:     by_value
      - .offset:         24
        .size:           1
        .value_kind:     by_value
    .group_segment_fixed_size: 0
    .kernarg_segment_align: 8
    .kernarg_segment_size: 28
    .language:       OpenCL C
    .language_version:
      - 2
      - 0
    .max_flat_workgroup_size: 1024
    .name:           _Z11fill_kernelIaZ21hipblaslt_init_deviceIaEv8ABC_dims24hipblaslt_initializationbPT_mmmmmEUlmE5_EvS4_mmT0_
    .private_segment_fixed_size: 0
    .sgpr_count:     0
    .sgpr_spill_count: 0
    .symbol:         _Z11fill_kernelIaZ21hipblaslt_init_deviceIaEv8ABC_dims24hipblaslt_initializationbPT_mmmmmEUlmE5_EvS4_mmT0_.kd
    .uniform_work_group_size: 1
    .uses_dynamic_stack: false
    .vgpr_count:     0
    .vgpr_spill_count: 0
    .wavefront_size: 32
    .workgroup_processor_mode: 1
  - .args:
      - .address_space:  global
        .offset:         0
        .size:           8
        .value_kind:     global_buffer
      - .offset:         8
        .size:           8
        .value_kind:     by_value
      - .offset:         16
        .size:           8
        .value_kind:     by_value
      - .offset:         24
        .size:           1
        .value_kind:     by_value
      - .offset:         32
        .size:           4
        .value_kind:     hidden_block_count_x
      - .offset:         36
        .size:           4
        .value_kind:     hidden_block_count_y
      - .offset:         40
        .size:           4
        .value_kind:     hidden_block_count_z
      - .offset:         44
        .size:           2
        .value_kind:     hidden_group_size_x
      - .offset:         46
        .size:           2
        .value_kind:     hidden_group_size_y
      - .offset:         48
        .size:           2
        .value_kind:     hidden_group_size_z
      - .offset:         50
        .size:           2
        .value_kind:     hidden_remainder_x
      - .offset:         52
        .size:           2
        .value_kind:     hidden_remainder_y
      - .offset:         54
        .size:           2
        .value_kind:     hidden_remainder_z
      - .offset:         72
        .size:           8
        .value_kind:     hidden_global_offset_x
      - .offset:         80
        .size:           8
        .value_kind:     hidden_global_offset_y
      - .offset:         88
        .size:           8
        .value_kind:     hidden_global_offset_z
      - .offset:         96
        .size:           2
        .value_kind:     hidden_grid_dims
    .group_segment_fixed_size: 0
    .kernarg_segment_align: 8
    .kernarg_segment_size: 288
    .language:       OpenCL C
    .language_version:
      - 2
      - 0
    .max_flat_workgroup_size: 1024
    .name:           _Z11fill_kernelIaZ21hipblaslt_init_deviceIaEv8ABC_dims24hipblaslt_initializationbPT_mmmmmEUlmE6_EvS4_mmT0_
    .private_segment_fixed_size: 0
    .sgpr_count:     16
    .sgpr_spill_count: 0
    .symbol:         _Z11fill_kernelIaZ21hipblaslt_init_deviceIaEv8ABC_dims24hipblaslt_initializationbPT_mmmmmEUlmE6_EvS4_mmT0_.kd
    .uniform_work_group_size: 1
    .uses_dynamic_stack: false
    .vgpr_count:     3
    .vgpr_spill_count: 0
    .wavefront_size: 32
    .workgroup_processor_mode: 1
  - .args:
      - .address_space:  global
        .offset:         0
        .size:           8
        .value_kind:     global_buffer
      - .offset:         8
        .size:           8
        .value_kind:     by_value
      - .offset:         16
        .size:           8
        .value_kind:     by_value
      - .offset:         24
        .size:           1
        .value_kind:     by_value
      - .offset:         32
        .size:           4
        .value_kind:     hidden_block_count_x
      - .offset:         36
        .size:           4
        .value_kind:     hidden_block_count_y
      - .offset:         40
        .size:           4
        .value_kind:     hidden_block_count_z
      - .offset:         44
        .size:           2
        .value_kind:     hidden_group_size_x
      - .offset:         46
        .size:           2
        .value_kind:     hidden_group_size_y
      - .offset:         48
        .size:           2
        .value_kind:     hidden_group_size_z
      - .offset:         50
        .size:           2
        .value_kind:     hidden_remainder_x
      - .offset:         52
        .size:           2
        .value_kind:     hidden_remainder_y
      - .offset:         54
        .size:           2
        .value_kind:     hidden_remainder_z
      - .offset:         72
        .size:           8
        .value_kind:     hidden_global_offset_x
      - .offset:         80
        .size:           8
        .value_kind:     hidden_global_offset_y
      - .offset:         88
        .size:           8
        .value_kind:     hidden_global_offset_z
      - .offset:         96
        .size:           2
        .value_kind:     hidden_grid_dims
    .group_segment_fixed_size: 0
    .kernarg_segment_align: 8
    .kernarg_segment_size: 288
    .language:       OpenCL C
    .language_version:
      - 2
      - 0
    .max_flat_workgroup_size: 1024
    .name:           _Z11fill_kernelIaZ21hipblaslt_init_deviceIaEv8ABC_dims24hipblaslt_initializationbPT_mmmmmEUlmE7_EvS4_mmT0_
    .private_segment_fixed_size: 0
    .sgpr_count:     18
    .sgpr_spill_count: 0
    .symbol:         _Z11fill_kernelIaZ21hipblaslt_init_deviceIaEv8ABC_dims24hipblaslt_initializationbPT_mmmmmEUlmE7_EvS4_mmT0_.kd
    .uniform_work_group_size: 1
    .uses_dynamic_stack: false
    .vgpr_count:     6
    .vgpr_spill_count: 0
    .wavefront_size: 32
    .workgroup_processor_mode: 1
  - .args:
      - .address_space:  global
        .offset:         0
        .size:           8
        .value_kind:     global_buffer
      - .offset:         8
        .size:           8
        .value_kind:     by_value
      - .offset:         16
        .size:           8
        .value_kind:     by_value
      - .offset:         24
        .size:           1
        .value_kind:     by_value
      - .offset:         32
        .size:           4
        .value_kind:     hidden_block_count_x
      - .offset:         36
        .size:           4
        .value_kind:     hidden_block_count_y
      - .offset:         40
        .size:           4
        .value_kind:     hidden_block_count_z
      - .offset:         44
        .size:           2
        .value_kind:     hidden_group_size_x
      - .offset:         46
        .size:           2
        .value_kind:     hidden_group_size_y
      - .offset:         48
        .size:           2
        .value_kind:     hidden_group_size_z
      - .offset:         50
        .size:           2
        .value_kind:     hidden_remainder_x
      - .offset:         52
        .size:           2
        .value_kind:     hidden_remainder_y
      - .offset:         54
        .size:           2
        .value_kind:     hidden_remainder_z
      - .offset:         72
        .size:           8
        .value_kind:     hidden_global_offset_x
      - .offset:         80
        .size:           8
        .value_kind:     hidden_global_offset_y
      - .offset:         88
        .size:           8
        .value_kind:     hidden_global_offset_z
      - .offset:         96
        .size:           2
        .value_kind:     hidden_grid_dims
    .group_segment_fixed_size: 0
    .kernarg_segment_align: 8
    .kernarg_segment_size: 288
    .language:       OpenCL C
    .language_version:
      - 2
      - 0
    .max_flat_workgroup_size: 1024
    .name:           _Z11fill_kernelIaZ21hipblaslt_init_deviceIaEv8ABC_dims24hipblaslt_initializationbPT_mmmmmEUlmE8_EvS4_mmT0_
    .private_segment_fixed_size: 0
    .sgpr_count:     16
    .sgpr_spill_count: 0
    .symbol:         _Z11fill_kernelIaZ21hipblaslt_init_deviceIaEv8ABC_dims24hipblaslt_initializationbPT_mmmmmEUlmE8_EvS4_mmT0_.kd
    .uniform_work_group_size: 1
    .uses_dynamic_stack: false
    .vgpr_count:     3
    .vgpr_spill_count: 0
    .wavefront_size: 32
    .workgroup_processor_mode: 1
  - .args:
      - .address_space:  global
        .offset:         0
        .size:           8
        .value_kind:     global_buffer
      - .offset:         8
        .size:           8
        .value_kind:     by_value
      - .offset:         16
        .size:           8
        .value_kind:     by_value
      - .offset:         24
        .size:           4
        .value_kind:     by_value
      - .offset:         32
        .size:           4
        .value_kind:     hidden_block_count_x
      - .offset:         36
        .size:           4
        .value_kind:     hidden_block_count_y
      - .offset:         40
        .size:           4
        .value_kind:     hidden_block_count_z
      - .offset:         44
        .size:           2
        .value_kind:     hidden_group_size_x
      - .offset:         46
        .size:           2
        .value_kind:     hidden_group_size_y
      - .offset:         48
        .size:           2
        .value_kind:     hidden_group_size_z
      - .offset:         50
        .size:           2
        .value_kind:     hidden_remainder_x
      - .offset:         52
        .size:           2
        .value_kind:     hidden_remainder_y
      - .offset:         54
        .size:           2
        .value_kind:     hidden_remainder_z
      - .offset:         72
        .size:           8
        .value_kind:     hidden_global_offset_x
      - .offset:         80
        .size:           8
        .value_kind:     hidden_global_offset_y
      - .offset:         88
        .size:           8
        .value_kind:     hidden_global_offset_z
      - .offset:         96
        .size:           2
        .value_kind:     hidden_grid_dims
    .group_segment_fixed_size: 0
    .kernarg_segment_align: 8
    .kernarg_segment_size: 288
    .language:       OpenCL C
    .language_version:
      - 2
      - 0
    .max_flat_workgroup_size: 1024
    .name:           _Z11fill_kernelIaZ21hipblaslt_init_deviceIaEv8ABC_dims24hipblaslt_initializationbPT_mmmmmEUlmE9_EvS4_mmT0_
    .private_segment_fixed_size: 0
    .sgpr_count:     18
    .sgpr_spill_count: 0
    .symbol:         _Z11fill_kernelIaZ21hipblaslt_init_deviceIaEv8ABC_dims24hipblaslt_initializationbPT_mmmmmEUlmE9_EvS4_mmT0_.kd
    .uniform_work_group_size: 1
    .uses_dynamic_stack: false
    .vgpr_count:     17
    .vgpr_spill_count: 0
    .wavefront_size: 32
    .workgroup_processor_mode: 1
amdhsa.target:   amdgcn-amd-amdhsa--gfx1100
amdhsa.version:
  - 1
  - 2
...

	.end_amdgpu_metadata
